;; amdgpu-corpus repo=ROCm/rocFFT kind=compiled arch=gfx906 opt=O3
	.text
	.amdgcn_target "amdgcn-amd-amdhsa--gfx906"
	.amdhsa_code_object_version 6
	.protected	fft_rtc_fwd_len125_factors_5_5_5_wgs_160_tpt_5_dim2_sp_op_CI_CI_sbcc_twdbase8_3step_dirReg_intrinsicReadWrite ; -- Begin function fft_rtc_fwd_len125_factors_5_5_5_wgs_160_tpt_5_dim2_sp_op_CI_CI_sbcc_twdbase8_3step_dirReg_intrinsicReadWrite
	.globl	fft_rtc_fwd_len125_factors_5_5_5_wgs_160_tpt_5_dim2_sp_op_CI_CI_sbcc_twdbase8_3step_dirReg_intrinsicReadWrite
	.p2align	8
	.type	fft_rtc_fwd_len125_factors_5_5_5_wgs_160_tpt_5_dim2_sp_op_CI_CI_sbcc_twdbase8_3step_dirReg_intrinsicReadWrite,@function
fft_rtc_fwd_len125_factors_5_5_5_wgs_160_tpt_5_dim2_sp_op_CI_CI_sbcc_twdbase8_3step_dirReg_intrinsicReadWrite: ; @fft_rtc_fwd_len125_factors_5_5_5_wgs_160_tpt_5_dim2_sp_op_CI_CI_sbcc_twdbase8_3step_dirReg_intrinsicReadWrite
; %bb.0:
	s_load_dwordx4 s[0:3], s[4:5], 0x10
	s_load_dwordx2 s[10:11], s[4:5], 0x20
	s_mov_b32 s7, 0
	s_mov_b64 s[26:27], 0
	s_waitcnt lgkmcnt(0)
	s_load_dwordx2 s[8:9], s[0:1], 0x8
	s_load_dwordx2 s[22:23], s[4:5], 0x0
	s_load_dwordx4 s[12:15], s[4:5], 0x58
	s_load_dwordx2 s[24:25], s[2:3], 0x0
	s_load_dwordx2 s[20:21], s[10:11], 0x0
	s_waitcnt lgkmcnt(0)
	s_add_u32 s0, s8, -1
	s_addc_u32 s1, s9, -1
	s_lshr_b64 s[0:1], s[0:1], 5
	s_add_u32 s0, s0, 1
	s_addc_u32 s1, s1, 0
	v_mov_b32_e32 v2, s1
	v_mov_b32_e32 v1, s0
	v_cmp_lt_u64_e32 vcc, s[6:7], v[1:2]
	s_cbranch_vccnz .LBB0_2
; %bb.1:
	v_cvt_f32_u32_e32 v1, s0
	s_sub_i32 s7, 0, s0
	v_rcp_iflag_f32_e32 v1, v1
	v_mul_f32_e32 v1, 0x4f7ffffe, v1
	v_cvt_u32_f32_e32 v1, v1
	v_readfirstlane_b32 s16, v1
	s_mul_i32 s7, s7, s16
	s_mul_hi_u32 s7, s16, s7
	s_add_i32 s16, s16, s7
	s_mul_hi_u32 s7, s6, s16
	s_mul_i32 s17, s7, s0
	s_sub_i32 s17, s6, s17
	s_add_i32 s16, s7, 1
	s_sub_i32 s18, s17, s0
	s_cmp_ge_u32 s17, s0
	s_cselect_b32 s7, s16, s7
	s_cselect_b32 s17, s18, s17
	s_add_i32 s16, s7, 1
	s_cmp_ge_u32 s17, s0
	s_cselect_b32 s26, s16, s7
.LBB0_2:
	s_mul_i32 s1, s26, s1
	s_mul_hi_u32 s7, s26, s0
	s_add_i32 s7, s7, s1
	s_mul_i32 s0, s26, s0
	s_load_dwordx4 s[28:31], s[2:3], 0x8
	s_load_dwordx4 s[16:19], s[10:11], 0x8
	s_sub_u32 s0, s6, s0
	s_subb_u32 s1, 0, s7
	s_lshl_b64 s[0:1], s[0:1], 5
	s_waitcnt lgkmcnt(0)
	s_mul_i32 s2, s0, s28
	s_mul_i32 s6, s30, s26
	;; [unrolled: 1-line block ×3, first 2 shown]
	s_add_i32 s6, s6, s2
	s_mul_i32 s2, s18, s26
	s_add_i32 s2, s2, s3
	v_and_b32_e32 v51, 31, v0
	v_or_b32_e32 v9, s0, v51
	s_add_u32 s0, s0, 32
	v_mov_b32_e32 v1, s8
	v_mov_b32_e32 v10, s1
	s_addc_u32 s1, s1, 0
	v_mov_b32_e32 v2, s9
	v_lshrrev_b32_e32 v50, 5, v0
	v_cmp_le_u64_e32 vcc, s[0:1], v[1:2]
	v_add_u32_e32 v2, 25, v50
	v_mul_lo_u32 v12, s28, v51
	v_mul_lo_u32 v1, s24, v50
	;; [unrolled: 1-line block ×3, first 2 shown]
	v_cmp_gt_u64_e64 s[0:1], s[8:9], v[9:10]
	s_mov_b32 s11, 0x20000
	s_or_b64 vcc, vcc, s[0:1]
	v_add_lshl_u32 v1, v12, v1, 3
	v_add_lshl_u32 v2, v12, v2, 3
	s_lshl_b32 s0, s6, 3
	v_cndmask_b32_e32 v1, -1, v1, vcc
	s_mov_b32 s10, -2
	s_mov_b32 s8, s12
	s_mov_b32 s9, s13
	v_cndmask_b32_e32 v2, -1, v2, vcc
	buffer_load_dwordx2 v[5:6], v1, s[8:11], s0 offen
	buffer_load_dwordx2 v[17:18], v2, s[8:11], s0 offen
	v_add_u32_e32 v1, 50, v50
	v_add_u32_e32 v2, 0x4b, v50
	v_mul_lo_u32 v1, s24, v1
	v_mul_lo_u32 v2, s24, v2
	v_add_u32_e32 v56, 5, v50
	v_add_u32_e32 v55, 10, v50
	v_add_lshl_u32 v1, v12, v1, 3
	v_add_lshl_u32 v2, v12, v2, 3
	v_cndmask_b32_e32 v1, -1, v1, vcc
	v_cndmask_b32_e32 v2, -1, v2, vcc
	buffer_load_dwordx2 v[21:22], v1, s[8:11], s0 offen
	buffer_load_dwordx2 v[23:24], v2, s[8:11], s0 offen
	v_add_u32_e32 v1, 0x64, v50
	v_mul_lo_u32 v1, s24, v1
	v_mul_lo_u32 v2, s24, v56
	v_add_u32_e32 v54, 15, v50
	v_add_u32_e32 v14, 0x46, v50
	v_add_lshl_u32 v1, v12, v1, 3
	v_cndmask_b32_e32 v1, -1, v1, vcc
	buffer_load_dwordx2 v[30:31], v1, s[8:11], s0 offen
	v_add_lshl_u32 v2, v12, v2, 3
	v_cndmask_b32_e32 v2, -1, v2, vcc
	buffer_load_dwordx2 v[10:11], v2, s[8:11], s0 offen
	v_add_u32_e32 v1, 30, v50
	v_add_u32_e32 v2, 55, v50
	v_mul_lo_u32 v1, s24, v1
	v_mul_lo_u32 v2, s24, v2
	;; [unrolled: 1-line block ×3, first 2 shown]
	v_add_u32_e32 v53, 20, v50
	v_add_lshl_u32 v1, v12, v1, 3
	v_add_lshl_u32 v2, v12, v2, 3
	v_cndmask_b32_e32 v1, -1, v1, vcc
	v_cndmask_b32_e32 v2, -1, v2, vcc
	buffer_load_dwordx2 v[25:26], v1, s[8:11], s0 offen
	buffer_load_dwordx2 v[32:33], v2, s[8:11], s0 offen
	v_or_b32_e32 v1, 0x50, v50
	v_mul_lo_u32 v1, s24, v1
	v_add_u32_e32 v2, 0x69, v50
	v_mul_lo_u32 v2, s24, v2
	s_lshl_b32 s2, s2, 3
	v_add_lshl_u32 v1, v12, v1, 3
	v_cndmask_b32_e32 v1, -1, v1, vcc
	v_add_lshl_u32 v2, v12, v2, 3
	buffer_load_dwordx2 v[34:35], v1, s[8:11], s0 offen
	v_cndmask_b32_e32 v2, -1, v2, vcc
	buffer_load_dwordx2 v[36:37], v2, s[8:11], s0 offen
	v_add_u32_e32 v2, 35, v50
	v_mul_lo_u32 v1, s24, v55
	v_mul_lo_u32 v2, s24, v2
	s_movk_i32 s3, 0x64
	v_add_lshl_u32 v1, v12, v1, 3
	v_add_lshl_u32 v2, v12, v2, 3
	v_cndmask_b32_e32 v1, -1, v1, vcc
	v_cndmask_b32_e32 v2, -1, v2, vcc
	buffer_load_dwordx2 v[7:8], v1, s[8:11], s0 offen
	buffer_load_dwordx2 v[28:29], v2, s[8:11], s0 offen
	v_add_u32_e32 v1, 60, v50
	v_add_u32_e32 v2, 0x55, v50
	v_mul_lo_u32 v1, s24, v1
	v_mul_lo_u32 v2, s24, v2
	v_add_lshl_u32 v1, v12, v1, 3
	v_add_lshl_u32 v2, v12, v2, 3
	v_cndmask_b32_e32 v1, -1, v1, vcc
	v_cndmask_b32_e32 v2, -1, v2, vcc
	buffer_load_dwordx2 v[57:58], v1, s[8:11], s0 offen
	buffer_load_dwordx2 v[59:60], v2, s[8:11], s0 offen
	v_add_u32_e32 v1, 0x6e, v50
	v_mul_lo_u32 v1, s24, v1
	v_mul_lo_u32 v2, s24, v54
	v_add_lshl_u32 v1, v12, v1, 3
	v_add_lshl_u32 v2, v12, v2, 3
	v_cndmask_b32_e32 v1, -1, v1, vcc
	v_cndmask_b32_e32 v2, -1, v2, vcc
	buffer_load_dwordx2 v[61:62], v1, s[8:11], s0 offen
	buffer_load_dwordx2 v[3:4], v2, s[8:11], s0 offen
	v_or_b32_e32 v1, 40, v50
	v_add_u32_e32 v2, 0x41, v50
	v_mul_lo_u32 v1, s24, v1
	v_mul_lo_u32 v2, s24, v2
	v_add_lshl_u32 v1, v12, v1, 3
	v_add_lshl_u32 v2, v12, v2, 3
	v_cndmask_b32_e32 v1, -1, v1, vcc
	v_cndmask_b32_e32 v2, -1, v2, vcc
	buffer_load_dwordx2 v[42:43], v1, s[8:11], s0 offen
	buffer_load_dwordx2 v[46:47], v2, s[8:11], s0 offen
	v_add_u32_e32 v1, 0x5a, v50
	v_add_u32_e32 v2, 0x73, v50
	v_mul_lo_u32 v1, s24, v1
	v_mul_lo_u32 v2, s24, v2
	s_waitcnt vmcnt(14)
	v_sub_f32_e32 v15, v22, v24
	v_sub_f32_e32 v19, v17, v21
	v_add_lshl_u32 v1, v12, v1, 3
	v_add_lshl_u32 v2, v12, v2, 3
	v_cndmask_b32_e32 v1, -1, v1, vcc
	v_cndmask_b32_e32 v2, -1, v2, vcc
	buffer_load_dwordx2 v[63:64], v1, s[8:11], s0 offen
	buffer_load_dwordx2 v[65:66], v2, s[8:11], s0 offen
	v_add_u32_e32 v2, 45, v50
	v_mul_lo_u32 v13, s24, v2
	v_mul_lo_u32 v1, s24, v53
	s_waitcnt vmcnt(15)
	v_sub_f32_e32 v20, v30, v23
	v_add_f32_e32 v19, v19, v20
	v_add_lshl_u32 v13, v12, v13, 3
	v_cndmask_b32_e32 v13, -1, v13, vcc
	buffer_load_dwordx2 v[38:39], v13, s[8:11], s0 offen
	v_add_lshl_u32 v13, v12, v14, 3
	v_cndmask_b32_e32 v13, -1, v13, vcc
	v_add_u32_e32 v14, 0x5f, v50
	buffer_load_dwordx2 v[40:41], v13, s[8:11], s0 offen
	v_or_b32_e32 v13, 0x78, v50
	v_mul_lo_u32 v14, s24, v14
	v_mul_lo_u32 v13, s24, v13
	v_add_lshl_u32 v1, v12, v1, 3
	v_cndmask_b32_e32 v1, -1, v1, vcc
	v_add_lshl_u32 v14, v12, v14, 3
	v_add_lshl_u32 v12, v12, v13, 3
	v_cndmask_b32_e32 v14, -1, v14, vcc
	v_cndmask_b32_e32 v12, -1, v12, vcc
	buffer_load_dwordx2 v[1:2], v1, s[8:11], s0 offen
	v_sub_f32_e32 v13, v18, v31
	buffer_load_dwordx2 v[48:49], v12, s[8:11], s0 offen
	buffer_load_dwordx2 v[44:45], v14, s[8:11], s0 offen
	v_add_f32_e32 v12, v5, v17
	v_add_f32_e32 v12, v12, v21
	;; [unrolled: 1-line block ×5, first 2 shown]
	v_fma_f32 v12, -0.5, v12, v5
	v_mov_b32_e32 v16, v12
	v_fmac_f32_e32 v16, 0x3f737871, v13
	v_fmac_f32_e32 v12, 0xbf737871, v13
	;; [unrolled: 1-line block ×6, first 2 shown]
	v_add_f32_e32 v19, v17, v30
	v_fma_f32 v5, -0.5, v19, v5
	v_mov_b32_e32 v20, v5
	v_fmac_f32_e32 v20, 0xbf737871, v15
	v_fmac_f32_e32 v5, 0x3f737871, v15
	;; [unrolled: 1-line block ×4, first 2 shown]
	v_add_f32_e32 v13, v6, v18
	v_add_f32_e32 v13, v13, v22
	;; [unrolled: 1-line block ×3, first 2 shown]
	v_sub_f32_e32 v19, v21, v17
	v_sub_f32_e32 v27, v23, v30
	v_add_f32_e32 v15, v13, v31
	v_add_f32_e32 v13, v22, v24
	;; [unrolled: 1-line block ×3, first 2 shown]
	v_fma_f32 v13, -0.5, v13, v6
	v_fmac_f32_e32 v20, 0x3e9e377a, v19
	v_fmac_f32_e32 v5, 0x3e9e377a, v19
	v_sub_f32_e32 v19, v17, v30
	v_mov_b32_e32 v17, v13
	v_fmac_f32_e32 v17, 0xbf737871, v19
	v_sub_f32_e32 v23, v21, v23
	v_sub_f32_e32 v21, v18, v22
	;; [unrolled: 1-line block ×3, first 2 shown]
	v_fmac_f32_e32 v13, 0x3f737871, v19
	v_fmac_f32_e32 v17, 0xbf167918, v23
	v_add_f32_e32 v21, v21, v27
	v_fmac_f32_e32 v13, 0x3f167918, v23
	v_fmac_f32_e32 v17, 0x3e9e377a, v21
	v_fmac_f32_e32 v13, 0x3e9e377a, v21
	v_add_f32_e32 v21, v18, v31
	v_fmac_f32_e32 v6, -0.5, v21
	v_mov_b32_e32 v21, v6
	v_fmac_f32_e32 v21, 0x3f737871, v23
	v_sub_f32_e32 v18, v22, v18
	v_sub_f32_e32 v22, v24, v31
	v_fmac_f32_e32 v6, 0xbf737871, v23
	v_fmac_f32_e32 v21, 0xbf167918, v19
	v_add_f32_e32 v18, v18, v22
	v_fmac_f32_e32 v6, 0x3f167918, v19
	v_fmac_f32_e32 v21, 0x3e9e377a, v18
	;; [unrolled: 1-line block ×3, first 2 shown]
	s_waitcnt vmcnt(18)
	v_add_f32_e32 v18, v10, v25
	s_waitcnt vmcnt(17)
	v_add_f32_e32 v18, v18, v32
	;; [unrolled: 2-line block ×4, first 2 shown]
	v_add_f32_e32 v18, v32, v34
	v_fma_f32 v18, -0.5, v18, v10
	v_sub_f32_e32 v19, v26, v37
	v_mov_b32_e32 v24, v18
	v_fmac_f32_e32 v24, 0x3f737871, v19
	v_sub_f32_e32 v23, v33, v35
	v_sub_f32_e32 v27, v25, v32
	;; [unrolled: 1-line block ×3, first 2 shown]
	v_fmac_f32_e32 v18, 0xbf737871, v19
	v_fmac_f32_e32 v24, 0x3f167918, v23
	v_add_f32_e32 v27, v27, v30
	v_fmac_f32_e32 v18, 0xbf167918, v23
	v_fmac_f32_e32 v24, 0x3e9e377a, v27
	;; [unrolled: 1-line block ×3, first 2 shown]
	v_add_f32_e32 v27, v25, v36
	v_fma_f32 v10, -0.5, v27, v10
	v_mov_b32_e32 v30, v10
	v_fmac_f32_e32 v30, 0xbf737871, v23
	v_fmac_f32_e32 v10, 0x3f737871, v23
	;; [unrolled: 1-line block ×4, first 2 shown]
	v_add_f32_e32 v19, v11, v26
	v_add_f32_e32 v19, v19, v33
	;; [unrolled: 1-line block ×3, first 2 shown]
	v_sub_f32_e32 v27, v32, v25
	v_sub_f32_e32 v31, v34, v36
	v_add_f32_e32 v23, v19, v37
	v_add_f32_e32 v19, v33, v35
	;; [unrolled: 1-line block ×3, first 2 shown]
	v_fma_f32 v19, -0.5, v19, v11
	v_fmac_f32_e32 v30, 0x3e9e377a, v27
	v_fmac_f32_e32 v10, 0x3e9e377a, v27
	v_sub_f32_e32 v27, v25, v36
	v_mov_b32_e32 v25, v19
	v_fmac_f32_e32 v25, 0xbf737871, v27
	v_sub_f32_e32 v32, v32, v34
	v_sub_f32_e32 v31, v26, v33
	;; [unrolled: 1-line block ×3, first 2 shown]
	v_fmac_f32_e32 v19, 0x3f737871, v27
	v_fmac_f32_e32 v25, 0xbf167918, v32
	v_add_f32_e32 v31, v31, v34
	v_fmac_f32_e32 v19, 0x3f167918, v32
	v_fmac_f32_e32 v25, 0x3e9e377a, v31
	;; [unrolled: 1-line block ×3, first 2 shown]
	v_add_f32_e32 v31, v26, v37
	v_fmac_f32_e32 v11, -0.5, v31
	v_mov_b32_e32 v31, v11
	v_fmac_f32_e32 v31, 0x3f737871, v32
	v_sub_f32_e32 v26, v33, v26
	v_sub_f32_e32 v33, v35, v37
	v_fmac_f32_e32 v11, 0xbf737871, v32
	v_fmac_f32_e32 v31, 0xbf167918, v27
	v_add_f32_e32 v26, v26, v33
	v_fmac_f32_e32 v11, 0x3f167918, v27
	v_fmac_f32_e32 v31, 0x3e9e377a, v26
	;; [unrolled: 1-line block ×3, first 2 shown]
	s_waitcnt vmcnt(13)
	v_add_f32_e32 v26, v7, v28
	s_waitcnt vmcnt(12)
	v_add_f32_e32 v26, v26, v57
	;; [unrolled: 2-line block ×4, first 2 shown]
	v_add_f32_e32 v26, v57, v59
	v_fma_f32 v26, -0.5, v26, v7
	v_sub_f32_e32 v27, v29, v62
	v_mov_b32_e32 v36, v26
	v_fmac_f32_e32 v36, 0x3f737871, v27
	v_sub_f32_e32 v33, v58, v60
	v_sub_f32_e32 v32, v28, v57
	;; [unrolled: 1-line block ×3, first 2 shown]
	v_fmac_f32_e32 v26, 0xbf737871, v27
	v_fmac_f32_e32 v36, 0x3f167918, v33
	v_add_f32_e32 v32, v32, v35
	v_fmac_f32_e32 v26, 0xbf167918, v33
	v_fmac_f32_e32 v36, 0x3e9e377a, v32
	;; [unrolled: 1-line block ×3, first 2 shown]
	v_add_f32_e32 v32, v28, v61
	v_fma_f32 v7, -0.5, v32, v7
	v_mov_b32_e32 v32, v7
	v_fmac_f32_e32 v32, 0xbf737871, v33
	v_fmac_f32_e32 v7, 0x3f737871, v33
	;; [unrolled: 1-line block ×4, first 2 shown]
	v_add_f32_e32 v27, v8, v29
	v_sub_f32_e32 v35, v57, v28
	v_sub_f32_e32 v37, v59, v61
	v_add_f32_e32 v27, v27, v58
	v_add_f32_e32 v35, v35, v37
	;; [unrolled: 1-line block ×3, first 2 shown]
	v_fmac_f32_e32 v32, 0x3e9e377a, v35
	v_fmac_f32_e32 v7, 0x3e9e377a, v35
	v_add_f32_e32 v35, v27, v62
	v_add_f32_e32 v27, v58, v60
	v_fma_f32 v27, -0.5, v27, v8
	v_sub_f32_e32 v28, v28, v61
	v_mov_b32_e32 v37, v27
	v_fmac_f32_e32 v37, 0xbf737871, v28
	v_sub_f32_e32 v52, v57, v59
	v_sub_f32_e32 v33, v29, v58
	;; [unrolled: 1-line block ×3, first 2 shown]
	v_fmac_f32_e32 v27, 0x3f737871, v28
	v_fmac_f32_e32 v37, 0xbf167918, v52
	v_add_f32_e32 v33, v33, v57
	v_fmac_f32_e32 v27, 0x3f167918, v52
	v_fmac_f32_e32 v37, 0x3e9e377a, v33
	;; [unrolled: 1-line block ×3, first 2 shown]
	v_add_f32_e32 v33, v29, v62
	v_fmac_f32_e32 v8, -0.5, v33
	v_mov_b32_e32 v33, v8
	v_fmac_f32_e32 v33, 0x3f737871, v52
	v_sub_f32_e32 v29, v58, v29
	v_sub_f32_e32 v57, v60, v62
	v_fmac_f32_e32 v8, 0xbf737871, v52
	v_fmac_f32_e32 v33, 0xbf167918, v28
	v_add_f32_e32 v29, v29, v57
	v_fmac_f32_e32 v8, 0x3f167918, v28
	v_fmac_f32_e32 v33, 0x3e9e377a, v29
	v_fmac_f32_e32 v8, 0x3e9e377a, v29
	s_waitcnt vmcnt(6)
	v_add_f32_e32 v29, v46, v63
	v_fma_f32 v52, -0.5, v29, v3
	s_waitcnt vmcnt(5)
	v_sub_f32_e32 v29, v43, v66
	v_mov_b32_e32 v59, v52
	v_fmac_f32_e32 v59, 0x3f737871, v29
	v_sub_f32_e32 v57, v47, v64
	v_sub_f32_e32 v58, v42, v46
	;; [unrolled: 1-line block ×3, first 2 shown]
	v_fmac_f32_e32 v52, 0xbf737871, v29
	v_fmac_f32_e32 v59, 0x3f167918, v57
	v_add_f32_e32 v58, v58, v60
	v_fmac_f32_e32 v52, 0xbf167918, v57
	v_fmac_f32_e32 v59, 0x3e9e377a, v58
	;; [unrolled: 1-line block ×3, first 2 shown]
	v_add_f32_e32 v58, v42, v65
	v_fma_f32 v58, -0.5, v58, v3
	v_mov_b32_e32 v60, v58
	v_add_f32_e32 v28, v3, v42
	v_fmac_f32_e32 v60, 0xbf737871, v57
	v_sub_f32_e32 v3, v46, v42
	v_sub_f32_e32 v61, v63, v65
	v_fmac_f32_e32 v58, 0x3f737871, v57
	v_fmac_f32_e32 v60, 0x3f167918, v29
	v_add_f32_e32 v3, v3, v61
	v_fmac_f32_e32 v58, 0xbf167918, v29
	v_fmac_f32_e32 v60, 0x3e9e377a, v3
	;; [unrolled: 1-line block ×3, first 2 shown]
	v_add_f32_e32 v3, v4, v43
	v_add_f32_e32 v3, v3, v47
	;; [unrolled: 1-line block ×5, first 2 shown]
	v_fma_f32 v57, -0.5, v3, v4
	v_sub_f32_e32 v3, v42, v65
	v_mov_b32_e32 v62, v57
	v_add_f32_e32 v28, v28, v46
	v_fmac_f32_e32 v62, 0xbf737871, v3
	v_sub_f32_e32 v42, v46, v63
	v_sub_f32_e32 v46, v43, v47
	;; [unrolled: 1-line block ×3, first 2 shown]
	v_fmac_f32_e32 v57, 0x3f737871, v3
	v_fmac_f32_e32 v62, 0xbf167918, v42
	v_add_f32_e32 v46, v46, v61
	v_fmac_f32_e32 v57, 0x3f167918, v42
	v_fmac_f32_e32 v62, 0x3e9e377a, v46
	;; [unrolled: 1-line block ×3, first 2 shown]
	v_add_f32_e32 v46, v43, v66
	v_fmac_f32_e32 v4, -0.5, v46
	v_add_f32_e32 v28, v28, v63
	v_mov_b32_e32 v63, v4
	v_fmac_f32_e32 v63, 0x3f737871, v42
	v_fmac_f32_e32 v4, 0xbf737871, v42
	;; [unrolled: 1-line block ×4, first 2 shown]
	s_waitcnt vmcnt(2)
	v_add_f32_e32 v3, v1, v38
	v_add_f32_e32 v3, v3, v40
	s_waitcnt vmcnt(0)
	v_add_f32_e32 v3, v3, v44
	v_sub_f32_e32 v43, v47, v43
	v_sub_f32_e32 v46, v64, v66
	v_add_f32_e32 v47, v3, v48
	v_add_f32_e32 v3, v40, v44
	;; [unrolled: 1-line block ×3, first 2 shown]
	v_fma_f32 v3, -0.5, v3, v1
	v_fmac_f32_e32 v63, 0x3e9e377a, v43
	v_fmac_f32_e32 v4, 0x3e9e377a, v43
	v_sub_f32_e32 v46, v39, v49
	v_mov_b32_e32 v43, v3
	v_fmac_f32_e32 v43, 0x3f737871, v46
	v_sub_f32_e32 v61, v41, v45
	v_sub_f32_e32 v42, v38, v40
	v_sub_f32_e32 v64, v48, v44
	v_fmac_f32_e32 v3, 0xbf737871, v46
	v_fmac_f32_e32 v43, 0x3f167918, v61
	v_add_f32_e32 v42, v42, v64
	v_fmac_f32_e32 v3, 0xbf167918, v61
	v_fmac_f32_e32 v43, 0x3e9e377a, v42
	;; [unrolled: 1-line block ×3, first 2 shown]
	v_add_f32_e32 v42, v38, v48
	v_fma_f32 v1, -0.5, v42, v1
	v_mov_b32_e32 v42, v1
	v_fmac_f32_e32 v42, 0xbf737871, v61
	v_fmac_f32_e32 v1, 0x3f737871, v61
	;; [unrolled: 1-line block ×4, first 2 shown]
	v_add_f32_e32 v46, v2, v39
	v_add_f32_e32 v46, v46, v41
	;; [unrolled: 1-line block ×6, first 2 shown]
	v_sub_f32_e32 v64, v40, v38
	v_sub_f32_e32 v65, v44, v48
	v_fma_f32 v46, -0.5, v46, v2
	v_add_f32_e32 v64, v64, v65
	v_sub_f32_e32 v38, v38, v48
	v_mov_b32_e32 v48, v46
	v_fmac_f32_e32 v42, 0x3e9e377a, v64
	v_fmac_f32_e32 v1, 0x3e9e377a, v64
	;; [unrolled: 1-line block ×3, first 2 shown]
	v_sub_f32_e32 v44, v40, v44
	v_sub_f32_e32 v40, v39, v41
	;; [unrolled: 1-line block ×3, first 2 shown]
	v_fmac_f32_e32 v46, 0x3f737871, v38
	v_fmac_f32_e32 v48, 0xbf167918, v44
	v_add_f32_e32 v40, v40, v64
	v_fmac_f32_e32 v46, 0x3f167918, v44
	v_fmac_f32_e32 v48, 0x3e9e377a, v40
	;; [unrolled: 1-line block ×3, first 2 shown]
	v_add_f32_e32 v40, v39, v49
	v_fmac_f32_e32 v2, -0.5, v40
	v_mov_b32_e32 v40, v2
	v_fmac_f32_e32 v40, 0x3f737871, v44
	v_sub_f32_e32 v39, v41, v39
	v_sub_f32_e32 v41, v45, v49
	v_fmac_f32_e32 v2, 0xbf737871, v44
	v_fmac_f32_e32 v40, 0xbf167918, v38
	v_add_f32_e32 v39, v39, v41
	v_fmac_f32_e32 v2, 0x3f167918, v38
	v_fmac_f32_e32 v40, 0x3e9e377a, v39
	;; [unrolled: 1-line block ×3, first 2 shown]
	v_mul_u32_u24_e32 v39, 0x500, v50
	v_lshlrev_b32_e32 v38, 3, v51
	v_add3_u32 v39, 0, v39, v38
	ds_write2_b64 v39, v[14:15], v[16:17] offset1:32
	ds_write2_b64 v39, v[20:21], v[5:6] offset0:64 offset1:96
	ds_write_b64 v39, v[12:13] offset:1024
	v_add_u32_e32 v5, 0x1800, v39
	ds_write2_b64 v5, v[22:23], v[24:25] offset0:32 offset1:64
	ds_write2_b64 v5, v[30:31], v[10:11] offset0:96 offset1:128
	ds_write_b64 v39, v[18:19] offset:7424
	v_add_u32_e32 v5, 0x3000, v39
	ds_write2_b64 v5, v[34:35], v[36:37] offset0:64 offset1:96
	ds_write2_b64 v5, v[32:33], v[7:8] offset0:128 offset1:160
	ds_write_b64 v39, v[26:27] offset:13824
	ds_write_b64 v39, v[28:29] offset:19200
	v_add_u32_e32 v5, 0x4c00, v39
	ds_write2_b32 v5, v59, v62 offset1:1
	ds_write2_b32 v5, v60, v63 offset0:64 offset1:65
	ds_write2_b32 v5, v58, v4 offset0:128 offset1:129
	;; [unrolled: 1-line block ×3, first 2 shown]
	v_add_u32_e32 v4, 0x6400, v39
	ds_write2_b32 v4, v47, v61 offset1:1
	ds_write2_b32 v4, v43, v48 offset0:64 offset1:65
	ds_write2_b32 v4, v42, v40 offset0:128 offset1:129
	;; [unrolled: 1-line block ×3, first 2 shown]
	v_add_u32_e32 v1, 0x6800, v39
	v_mul_lo_u16_e32 v7, 52, v50
	v_mov_b32_e32 v5, 5
	ds_write2_b32 v1, v3, v46 offset1:1
	v_mul_lo_u16_sdwa v1, v7, v5 dst_sel:DWORD dst_unused:UNUSED_PAD src0_sel:BYTE_1 src1_sel:DWORD
	v_sub_u16_e32 v1, v50, v1
	v_mul_lo_u16_e32 v31, 52, v56
	v_and_b32_e32 v8, 0xff, v1
	v_mul_lo_u16_sdwa v10, v31, v5 dst_sel:DWORD dst_unused:UNUSED_PAD src0_sel:BYTE_1 src1_sel:DWORD
	v_lshlrev_b32_e32 v6, 5, v8
	v_sub_u16_e32 v10, v56, v10
	s_waitcnt lgkmcnt(0)
	s_barrier
	global_load_dwordx4 v[1:4], v6, s[22:23]
	v_and_b32_e32 v32, 0xff, v10
	v_lshlrev_b32_e32 v10, 5, v32
	global_load_dwordx4 v[33:36], v10, s[22:23]
	v_mul_lo_u16_e32 v25, 52, v55
	v_mul_lo_u16_sdwa v11, v25, v5 dst_sel:DWORD dst_unused:UNUSED_PAD src0_sel:BYTE_1 src1_sel:DWORD
	v_sub_u16_e32 v11, v55, v11
	v_and_b32_e32 v30, 0xff, v11
	v_lshlrev_b32_e32 v11, 5, v30
	global_load_dwordx4 v[39:42], v11, s[22:23]
	v_mul_lo_u16_e32 v23, 52, v54
	v_mul_lo_u16_sdwa v12, v23, v5 dst_sel:DWORD dst_unused:UNUSED_PAD src0_sel:BYTE_1 src1_sel:DWORD
	v_sub_u16_e32 v12, v54, v12
	v_and_b32_e32 v24, 0xff, v12
	v_mul_lo_u16_e32 v21, 52, v53
	v_lshlrev_b32_e32 v13, 5, v24
	global_load_dwordx4 v[59:62], v13, s[22:23]
	v_mul_lo_u16_sdwa v5, v21, v5 dst_sel:DWORD dst_unused:UNUSED_PAD src0_sel:BYTE_1 src1_sel:DWORD
	v_sub_u16_e32 v5, v53, v5
	v_and_b32_e32 v22, 0xff, v5
	v_lshlrev_b32_e32 v5, 5, v22
	global_load_dwordx4 v[63:66], v5, s[22:23]
	global_load_dwordx4 v[80:83], v6, s[22:23] offset:16
	global_load_dwordx4 v[84:87], v10, s[22:23] offset:16
	v_lshlrev_b32_e32 v6, 8, v50
	v_add3_u32 v12, 0, v6, v38
	v_add_u32_e32 v17, 0x1800, v12
	ds_read2_b64 v[43:46], v17 offset0:32 offset1:192
	v_add_u32_e32 v19, 0x2c00, v12
	ds_read2_b64 v[75:78], v19 offset0:32 offset1:192
	;; [unrolled: 2-line block ×3, first 2 shown]
	v_add_u32_e32 v16, 0x2200, v12
	v_add_u32_e32 v18, 0x4000, v12
	;; [unrolled: 1-line block ×6, first 2 shown]
	s_movk_i32 s0, 0x320
	v_cmp_gt_u32_e64 s[0:1], s0, v0
	s_mov_b32 s8, s14
	s_mov_b32 s9, s15
	s_waitcnt vmcnt(6) lgkmcnt(2)
	v_mul_f32_e32 v6, v44, v2
	v_mul_f32_e32 v70, v43, v2
	v_fma_f32 v73, v43, v1, -v6
	v_fmac_f32_e32 v70, v44, v1
	s_waitcnt lgkmcnt(1)
	v_mul_f32_e32 v1, v78, v4
	v_fma_f32 v74, v77, v3, -v1
	v_mul_f32_e32 v72, v77, v4
	s_waitcnt vmcnt(5)
	v_mul_f32_e32 v1, v46, v34
	v_fmac_f32_e32 v72, v78, v3
	v_fma_f32 v57, v45, v33, -v1
	ds_read2_b64 v[1:4], v16 offset0:32 offset1:192
	s_waitcnt lgkmcnt(1)
	v_mul_f32_e32 v6, v89, v36
	v_fma_f32 v58, v88, v35, -v6
	v_mul_f32_e32 v49, v45, v34
	v_mul_f32_e32 v52, v88, v36
	s_waitcnt vmcnt(4) lgkmcnt(0)
	v_mul_f32_e32 v6, v2, v40
	v_fma_f32 v47, v1, v39, -v6
	v_mul_f32_e32 v6, v91, v42
	v_mul_f32_e32 v45, v90, v42
	v_fmac_f32_e32 v52, v89, v35
	v_fma_f32 v48, v90, v41, -v6
	v_fmac_f32_e32 v45, v91, v41
	ds_read2_b64 v[88:91], v18 offset0:32 offset1:192
	v_fmac_f32_e32 v49, v46, v33
	v_mul_f32_e32 v46, v1, v40
	s_waitcnt vmcnt(3)
	v_mul_f32_e32 v1, v4, v60
	v_fma_f32 v42, v3, v59, -v1
	v_mul_f32_e32 v40, v3, v60
	s_waitcnt lgkmcnt(0)
	v_mul_f32_e32 v1, v89, v62
	s_waitcnt vmcnt(2)
	v_mul_f32_e32 v6, v76, v64
	v_fmac_f32_e32 v46, v2, v39
	v_fmac_f32_e32 v40, v4, v59
	v_fma_f32 v43, v88, v61, -v1
	v_mul_f32_e32 v41, v88, v62
	ds_read2_b64 v[1:4], v26 offset0:32 offset1:192
	v_fma_f32 v35, v75, v63, -v6
	v_mul_f32_e32 v6, v91, v66
	v_mul_f32_e32 v34, v90, v66
	v_fmac_f32_e32 v41, v89, v61
	v_fma_f32 v37, v90, v65, -v6
	v_fmac_f32_e32 v34, v91, v65
	ds_read2_b64 v[88:91], v27 offset0:32 offset1:192
	v_mul_f32_e32 v33, v75, v64
	s_waitcnt vmcnt(1) lgkmcnt(1)
	v_mul_f32_e32 v6, v2, v81
	v_fmac_f32_e32 v33, v76, v63
	v_fma_f32 v79, v1, v80, -v6
	v_mul_f32_e32 v76, v1, v81
	s_waitcnt lgkmcnt(0)
	v_mul_f32_e32 v1, v91, v83
	v_fmac_f32_e32 v76, v2, v80
	v_fma_f32 v80, v90, v82, -v1
	v_mul_f32_e32 v77, v90, v83
	s_waitcnt vmcnt(0)
	v_mul_f32_e32 v1, v4, v85
	v_mul_f32_e32 v60, v3, v85
	v_fmac_f32_e32 v77, v91, v82
	v_fma_f32 v64, v3, v84, -v1
	v_fmac_f32_e32 v60, v4, v84
	global_load_dwordx4 v[81:84], v11, s[22:23] offset:16
	ds_read2_b64 v[1:4], v28 offset0:32 offset1:192
	v_add_u32_e32 v36, 0x7200, v12
	v_mov_b32_e32 v39, 25
	v_sub_f32_e32 v10, v76, v77
	v_mul_lo_u16_sdwa v7, v7, v39 dst_sel:DWORD dst_unused:UNUSED_PAD src0_sel:BYTE_1 src1_sel:DWORD
	s_waitcnt lgkmcnt(0)
	v_mul_f32_e32 v6, v2, v87
	v_fma_f32 v66, v1, v86, -v6
	v_mul_f32_e32 v62, v1, v87
	v_fmac_f32_e32 v62, v2, v86
	v_sub_f32_e32 v86, v74, v79
	v_sub_f32_e32 v87, v73, v80
	v_mul_u32_u24_sdwa v31, v31, v39 dst_sel:DWORD dst_unused:UNUSED_PAD src0_sel:BYTE_1 src1_sel:DWORD
	v_add_lshl_u32 v31, v31, v32, 8
	v_add3_u32 v31, 0, v31, v38
	s_waitcnt vmcnt(0)
	v_mul_f32_e32 v1, v4, v84
	v_mul_f32_e32 v67, v3, v84
	v_fma_f32 v69, v3, v83, -v1
	v_fmac_f32_e32 v67, v4, v83
	ds_read2_b64 v[1:4], v29 offset0:32 offset1:192
	s_waitcnt lgkmcnt(0)
	v_mul_f32_e32 v6, v2, v82
	v_mul_f32_e32 v68, v1, v82
	v_fma_f32 v71, v1, v81, -v6
	v_fmac_f32_e32 v68, v2, v81
	global_load_dwordx4 v[81:84], v13, s[22:23] offset:16
	s_waitcnt vmcnt(0)
	v_mul_f32_e32 v1, v4, v82
	v_mul_f32_e32 v59, v3, v82
	v_fma_f32 v63, v3, v81, -v1
	v_fmac_f32_e32 v59, v4, v81
	ds_read2_b64 v[1:4], v36 offset0:32 offset1:192
	s_waitcnt lgkmcnt(0)
	v_mul_f32_e32 v6, v2, v84
	v_mul_f32_e32 v61, v1, v84
	v_fma_f32 v65, v1, v83, -v6
	v_fmac_f32_e32 v61, v2, v83
	global_load_dwordx4 v[82:85], v5, s[22:23] offset:16
	v_add_f32_e32 v2, v73, v80
	v_sub_f32_e32 v5, v79, v80
	v_add_f32_e32 v6, v70, v77
	s_waitcnt vmcnt(0)
	v_mul_f32_e32 v1, v89, v83
	v_fma_f32 v81, v88, v82, -v1
	v_mul_f32_e32 v75, v88, v83
	v_mul_f32_e32 v1, v4, v85
	;; [unrolled: 1-line block ×3, first 2 shown]
	v_fmac_f32_e32 v75, v89, v82
	v_fma_f32 v82, v3, v84, -v1
	v_fmac_f32_e32 v78, v4, v84
	ds_read_b64 v[3:4], v12
	v_add_f32_e32 v1, v74, v79
	v_sub_f32_e32 v83, v72, v76
	v_sub_f32_e32 v84, v70, v77
	v_add_lshl_u32 v89, v7, v8, 8
	s_waitcnt lgkmcnt(0)
	v_add_f32_e32 v85, v3, v73
	v_fma_f32 v1, -0.5, v1, v3
	v_fma_f32 v3, -0.5, v2, v3
	v_sub_f32_e32 v2, v74, v73
	v_add_f32_e32 v2, v2, v5
	v_mov_b32_e32 v5, v3
	v_fmac_f32_e32 v5, 0xbf737871, v83
	v_fmac_f32_e32 v3, 0x3f737871, v83
	;; [unrolled: 1-line block ×6, first 2 shown]
	v_add_f32_e32 v2, v72, v76
	v_fma_f32 v2, -0.5, v2, v4
	v_add_f32_e32 v88, v4, v70
	v_fmac_f32_e32 v4, -0.5, v6
	v_sub_f32_e32 v6, v72, v70
	v_add_f32_e32 v10, v6, v10
	v_mov_b32_e32 v6, v4
	v_lshlrev_b32_e32 v7, 8, v56
	v_fmac_f32_e32 v6, 0x3f737871, v86
	v_fmac_f32_e32 v4, 0xbf737871, v86
	v_add3_u32 v15, 0, v7, v38
	v_lshlrev_b32_e32 v7, 8, v55
	v_fmac_f32_e32 v6, 0xbf167918, v87
	v_fmac_f32_e32 v4, 0x3f167918, v87
	v_add3_u32 v14, 0, v7, v38
	v_lshlrev_b32_e32 v7, 8, v54
	v_add3_u32 v89, 0, v89, v38
	v_fmac_f32_e32 v6, 0x3e9e377a, v10
	v_fmac_f32_e32 v4, 0x3e9e377a, v10
	v_add3_u32 v13, 0, v7, v38
	v_lshlrev_b32_e32 v7, 8, v53
	v_add_u32_e32 v94, 0x800, v89
	v_add3_u32 v44, 0, v7, v38
	ds_read_b64 v[90:91], v15
	ds_read_b64 v[92:93], v14
	;; [unrolled: 1-line block ×4, first 2 shown]
	s_waitcnt lgkmcnt(0)
	s_barrier
	ds_write2_b64 v94, v[5:6], v[3:4] offset0:64 offset1:224
	v_sub_f32_e32 v4, v73, v74
	v_sub_f32_e32 v5, v80, v79
	v_add_f32_e32 v73, v4, v5
	v_sub_f32_e32 v5, v70, v72
	v_sub_f32_e32 v6, v77, v76
	v_add_f32_e32 v70, v5, v6
	v_mov_b32_e32 v5, v1
	v_mov_b32_e32 v6, v2
	v_fmac_f32_e32 v1, 0xbf737871, v84
	v_fmac_f32_e32 v2, 0x3f737871, v87
	;; [unrolled: 1-line block ×6, first 2 shown]
	v_add_f32_e32 v3, v85, v74
	v_add_f32_e32 v4, v88, v72
	v_fmac_f32_e32 v5, 0x3f737871, v84
	v_fmac_f32_e32 v6, 0xbf737871, v87
	ds_write_b64 v89, v[1:2] offset:5120
	v_sub_f32_e32 v1, v57, v58
	v_sub_f32_e32 v2, v66, v64
	v_add_f32_e32 v3, v3, v79
	v_add_f32_e32 v4, v4, v76
	v_fmac_f32_e32 v5, 0x3f167918, v83
	v_fmac_f32_e32 v6, 0xbf167918, v86
	v_add_f32_e32 v2, v1, v2
	v_add_f32_e32 v1, v58, v64
	;; [unrolled: 1-line block ×4, first 2 shown]
	v_fmac_f32_e32 v5, 0x3e9e377a, v73
	v_fmac_f32_e32 v6, 0x3e9e377a, v70
	v_fma_f32 v1, -0.5, v1, v90
	ds_write2_b64 v89, v[3:4], v[5:6] offset1:160
	v_sub_f32_e32 v4, v49, v62
	v_mov_b32_e32 v3, v1
	v_fmac_f32_e32 v3, 0x3f737871, v4
	v_sub_f32_e32 v6, v52, v60
	v_fmac_f32_e32 v1, 0xbf737871, v4
	v_fmac_f32_e32 v3, 0x3f167918, v6
	;; [unrolled: 1-line block ×3, first 2 shown]
	v_add_f32_e32 v5, v57, v66
	v_fmac_f32_e32 v3, 0x3e9e377a, v2
	v_fmac_f32_e32 v1, 0x3e9e377a, v2
	v_add_f32_e32 v2, v90, v57
	v_fma_f32 v90, -0.5, v5, v90
	v_sub_f32_e32 v5, v58, v57
	v_sub_f32_e32 v70, v64, v66
	v_add_f32_e32 v70, v5, v70
	v_mov_b32_e32 v5, v90
	v_fmac_f32_e32 v5, 0xbf737871, v6
	v_fmac_f32_e32 v90, 0x3f737871, v6
	;; [unrolled: 1-line block ×4, first 2 shown]
	v_add_f32_e32 v2, v2, v58
	v_add_f32_e32 v4, v91, v49
	;; [unrolled: 1-line block ×8, first 2 shown]
	v_fma_f32 v2, -0.5, v2, v91
	v_sub_f32_e32 v4, v49, v52
	v_sub_f32_e32 v6, v62, v60
	;; [unrolled: 1-line block ×3, first 2 shown]
	v_add_f32_e32 v6, v4, v6
	v_mov_b32_e32 v4, v2
	v_sub_f32_e32 v58, v58, v64
	v_fmac_f32_e32 v4, 0xbf737871, v57
	v_fmac_f32_e32 v2, 0x3f737871, v57
	;; [unrolled: 1-line block ×6, first 2 shown]
	v_add_f32_e32 v6, v49, v62
	v_fmac_f32_e32 v91, -0.5, v6
	v_sub_f32_e32 v6, v52, v49
	v_sub_f32_e32 v49, v60, v62
	v_add_f32_e32 v49, v6, v49
	v_mov_b32_e32 v6, v91
	v_fmac_f32_e32 v6, 0x3f737871, v58
	v_fmac_f32_e32 v91, 0xbf737871, v58
	;; [unrolled: 1-line block ×6, first 2 shown]
	v_sub_f32_e32 v49, v47, v48
	v_sub_f32_e32 v52, v69, v71
	v_add_f32_e32 v49, v49, v52
	v_add_f32_e32 v52, v48, v71
	v_fma_f32 v57, -0.5, v52, v92
	v_fmac_f32_e32 v5, 0x3e9e377a, v70
	v_fmac_f32_e32 v90, 0x3e9e377a, v70
	v_sub_f32_e32 v52, v46, v67
	v_mov_b32_e32 v70, v57
	v_fmac_f32_e32 v70, 0x3f737871, v52
	v_sub_f32_e32 v58, v45, v68
	v_fmac_f32_e32 v57, 0xbf737871, v52
	v_fmac_f32_e32 v70, 0x3f167918, v58
	;; [unrolled: 1-line block ×3, first 2 shown]
	v_add_f32_e32 v60, v47, v69
	v_fmac_f32_e32 v70, 0x3e9e377a, v49
	v_fmac_f32_e32 v57, 0x3e9e377a, v49
	v_add_f32_e32 v49, v92, v47
	v_fma_f32 v92, -0.5, v60, v92
	v_mov_b32_e32 v66, v92
	v_add_f32_e32 v49, v49, v48
	v_fmac_f32_e32 v66, 0xbf737871, v58
	v_fmac_f32_e32 v92, 0x3f737871, v58
	v_add_f32_e32 v49, v49, v71
	v_fmac_f32_e32 v66, 0x3f167918, v52
	v_fmac_f32_e32 v92, 0xbf167918, v52
	v_add_f32_e32 v52, v93, v46
	v_add_f32_e32 v76, v49, v69
	;; [unrolled: 1-line block ×4, first 2 shown]
	v_fma_f32 v58, -0.5, v49, v93
	v_sub_f32_e32 v60, v48, v47
	v_sub_f32_e32 v62, v71, v69
	v_add_f32_e32 v52, v52, v68
	v_sub_f32_e32 v47, v47, v69
	v_sub_f32_e32 v48, v48, v71
	v_mov_b32_e32 v71, v58
	v_add_f32_e32 v77, v52, v67
	v_sub_f32_e32 v49, v46, v45
	v_sub_f32_e32 v52, v67, v68
	v_fmac_f32_e32 v71, 0xbf737871, v47
	v_fmac_f32_e32 v58, 0x3f737871, v47
	v_add_f32_e32 v49, v49, v52
	v_fmac_f32_e32 v71, 0xbf167918, v48
	v_fmac_f32_e32 v58, 0x3f167918, v48
	;; [unrolled: 1-line block ×4, first 2 shown]
	v_add_f32_e32 v49, v46, v67
	v_fmac_f32_e32 v93, -0.5, v49
	v_sub_f32_e32 v45, v45, v46
	v_sub_f32_e32 v46, v68, v67
	v_mov_b32_e32 v67, v93
	v_fmac_f32_e32 v67, 0x3f737871, v48
	v_fmac_f32_e32 v93, 0xbf737871, v48
	v_add_f32_e32 v45, v45, v46
	v_fmac_f32_e32 v67, 0xbf167918, v47
	v_fmac_f32_e32 v93, 0x3f167918, v47
	v_fmac_f32_e32 v67, 0x3e9e377a, v45
	v_fmac_f32_e32 v93, 0x3e9e377a, v45
	v_sub_f32_e32 v45, v42, v43
	v_sub_f32_e32 v46, v65, v63
	v_add_f32_e32 v46, v45, v46
	v_add_f32_e32 v45, v43, v63
	v_fma_f32 v45, -0.5, v45, v10
	v_sub_f32_e32 v48, v40, v61
	v_mov_b32_e32 v47, v45
	v_fmac_f32_e32 v47, 0x3f737871, v48
	v_sub_f32_e32 v49, v41, v59
	v_fmac_f32_e32 v45, 0xbf737871, v48
	v_add_f32_e32 v60, v60, v62
	v_fmac_f32_e32 v47, 0x3f167918, v49
	v_fmac_f32_e32 v45, 0xbf167918, v49
	v_add_f32_e32 v52, v42, v65
	v_fmac_f32_e32 v66, 0x3e9e377a, v60
	v_fmac_f32_e32 v92, 0x3e9e377a, v60
	;; [unrolled: 1-line block ×4, first 2 shown]
	v_add_f32_e32 v46, v10, v42
	v_fma_f32 v10, -0.5, v52, v10
	v_sub_f32_e32 v52, v43, v42
	v_sub_f32_e32 v60, v63, v65
	v_add_f32_e32 v52, v52, v60
	v_mov_b32_e32 v60, v10
	v_fmac_f32_e32 v60, 0xbf737871, v49
	v_fmac_f32_e32 v10, 0x3f737871, v49
	;; [unrolled: 1-line block ×4, first 2 shown]
	v_add_f32_e32 v46, v46, v43
	v_add_f32_e32 v48, v11, v40
	;; [unrolled: 1-line block ×8, first 2 shown]
	v_fma_f32 v46, -0.5, v46, v11
	v_sub_f32_e32 v48, v40, v41
	v_sub_f32_e32 v49, v61, v59
	v_sub_f32_e32 v42, v42, v65
	v_add_f32_e32 v49, v48, v49
	v_mov_b32_e32 v48, v46
	v_sub_f32_e32 v43, v43, v63
	v_fmac_f32_e32 v48, 0xbf737871, v42
	v_fmac_f32_e32 v46, 0x3f737871, v42
	;; [unrolled: 1-line block ×6, first 2 shown]
	v_add_f32_e32 v49, v40, v61
	v_fmac_f32_e32 v11, -0.5, v49
	v_sub_f32_e32 v40, v41, v40
	v_sub_f32_e32 v41, v59, v61
	v_mov_b32_e32 v61, v11
	v_fmac_f32_e32 v61, 0x3f737871, v43
	v_fmac_f32_e32 v11, 0xbf737871, v43
	v_add_f32_e32 v40, v40, v41
	v_fmac_f32_e32 v61, 0xbf167918, v42
	v_fmac_f32_e32 v11, 0x3f167918, v42
	;; [unrolled: 1-line block ×4, first 2 shown]
	v_sub_f32_e32 v40, v35, v37
	v_sub_f32_e32 v41, v82, v81
	v_add_f32_e32 v41, v40, v41
	v_add_f32_e32 v40, v37, v81
	v_fma_f32 v40, -0.5, v40, v7
	v_sub_f32_e32 v43, v33, v78
	v_mov_b32_e32 v42, v40
	v_fmac_f32_e32 v42, 0x3f737871, v43
	v_sub_f32_e32 v49, v34, v75
	v_fmac_f32_e32 v40, 0xbf737871, v43
	v_fmac_f32_e32 v60, 0x3e9e377a, v52
	;; [unrolled: 1-line block ×5, first 2 shown]
	v_add_f32_e32 v52, v35, v82
	v_fmac_f32_e32 v42, 0x3e9e377a, v41
	v_fmac_f32_e32 v40, 0x3e9e377a, v41
	v_add_f32_e32 v41, v7, v35
	v_fma_f32 v7, -0.5, v52, v7
	v_mov_b32_e32 v62, v7
	v_fmac_f32_e32 v62, 0xbf737871, v49
	v_fmac_f32_e32 v7, 0x3f737871, v49
	;; [unrolled: 1-line block ×4, first 2 shown]
	v_add_f32_e32 v41, v41, v37
	v_add_f32_e32 v43, v8, v33
	ds_write2_b64 v31, v[72:73], v[3:4] offset1:160
	v_add_u32_e32 v3, 0x800, v31
	v_add_f32_e32 v41, v41, v81
	v_add_f32_e32 v43, v43, v34
	ds_write2_b64 v3, v[5:6], v[90:91] offset0:64 offset1:224
	ds_write_b64 v31, v[1:2] offset:5120
	v_mul_u32_u24_sdwa v1, v25, v39 dst_sel:DWORD dst_unused:UNUSED_PAD src0_sel:BYTE_1 src1_sel:DWORD
	v_add_f32_e32 v43, v43, v75
	v_add_f32_e32 v64, v41, v82
	;; [unrolled: 1-line block ×3, first 2 shown]
	v_add_lshl_u32 v1, v1, v30, 8
	v_add_f32_e32 v65, v43, v78
	v_fma_f32 v41, -0.5, v41, v8
	v_sub_f32_e32 v43, v33, v34
	v_sub_f32_e32 v49, v78, v75
	v_add3_u32 v1, 0, v1, v38
	v_sub_f32_e32 v52, v37, v35
	v_sub_f32_e32 v35, v35, v82
	v_add_f32_e32 v49, v43, v49
	v_mov_b32_e32 v43, v41
	v_add_u32_e32 v2, 0x800, v1
	v_sub_f32_e32 v37, v37, v81
	v_fmac_f32_e32 v43, 0xbf737871, v35
	v_fmac_f32_e32 v41, 0x3f737871, v35
	ds_write2_b64 v1, v[76:77], v[70:71] offset1:160
	ds_write2_b64 v2, v[66:67], v[92:93] offset0:64 offset1:224
	ds_write_b64 v1, v[57:58] offset:5120
	v_mul_u32_u24_sdwa v1, v23, v39 dst_sel:DWORD dst_unused:UNUSED_PAD src0_sel:BYTE_1 src1_sel:DWORD
	v_fmac_f32_e32 v43, 0xbf167918, v37
	v_fmac_f32_e32 v41, 0x3f167918, v37
	v_add_lshl_u32 v1, v1, v24, 8
	v_fmac_f32_e32 v43, 0x3e9e377a, v49
	v_fmac_f32_e32 v41, 0x3e9e377a, v49
	v_add_f32_e32 v49, v33, v78
	v_add3_u32 v1, 0, v1, v38
	v_fmac_f32_e32 v8, -0.5, v49
	v_add_u32_e32 v2, 0x800, v1
	v_mov_b32_e32 v63, v8
	ds_write2_b64 v1, v[68:69], v[47:48] offset1:160
	ds_write2_b64 v2, v[60:61], v[10:11] offset0:64 offset1:224
	ds_write_b64 v1, v[45:46] offset:5120
	v_mul_u32_u24_sdwa v1, v21, v39 dst_sel:DWORD dst_unused:UNUSED_PAD src0_sel:BYTE_1 src1_sel:DWORD
	v_sub_f32_e32 v59, v81, v82
	v_sub_f32_e32 v33, v34, v33
	;; [unrolled: 1-line block ×3, first 2 shown]
	v_fmac_f32_e32 v63, 0x3f737871, v37
	v_fmac_f32_e32 v8, 0xbf737871, v37
	v_add_lshl_u32 v1, v1, v22, 8
	v_add_f32_e32 v52, v52, v59
	v_add_f32_e32 v33, v33, v34
	v_fmac_f32_e32 v63, 0xbf167918, v35
	v_fmac_f32_e32 v8, 0x3f167918, v35
	v_add3_u32 v1, 0, v1, v38
	v_fmac_f32_e32 v62, 0x3e9e377a, v52
	v_fmac_f32_e32 v7, 0x3e9e377a, v52
	;; [unrolled: 1-line block ×4, first 2 shown]
	v_add_u32_e32 v2, 0x800, v1
	ds_write2_b64 v1, v[64:65], v[42:43] offset1:160
	ds_write2_b64 v2, v[62:63], v[7:8] offset0:64 offset1:224
	ds_write_b64 v1, v[40:41] offset:5120
	v_subrev_u32_e32 v1, 25, v50
	v_cndmask_b32_e64 v52, v1, v50, s[0:1]
	v_lshlrev_b32_e32 v10, 2, v52
	v_mov_b32_e32 v11, 0
	v_lshlrev_b64 v[1:2], 3, v[10:11]
	v_mov_b32_e32 v25, s23
	v_add_co_u32_e64 v21, s[0:1], s22, v1
	v_addc_co_u32_e64 v22, s[0:1], v25, v2, s[0:1]
	s_movk_i32 s0, 0x280
	v_subrev_u32_e32 v5, 20, v50
	v_cmp_gt_u32_e64 s[0:1], s0, v0
	v_cndmask_b32_e64 v38, v5, v56, s[0:1]
	v_lshlrev_b32_e32 v10, 2, v38
	v_lshlrev_b64 v[5:6], 3, v[10:11]
	s_waitcnt lgkmcnt(0)
	v_add_co_u32_e64 v34, s[0:1], s22, v5
	s_barrier
	global_load_dwordx4 v[1:4], v[21:22], off offset:160
	v_addc_co_u32_e64 v35, s[0:1], v25, v6, s[0:1]
	global_load_dwordx4 v[5:8], v[34:35], off offset:160
	s_movk_i32 s0, 0x1e0
	v_add_u32_e32 v10, -15, v50
	v_cmp_gt_u32_e64 s[0:1], s0, v0
	v_cndmask_b32_e64 v37, v10, v55, s[0:1]
	v_lshlrev_b32_e32 v10, 2, v37
	v_lshlrev_b64 v[23:24], 3, v[10:11]
	v_add_u32_e32 v10, -10, v50
	v_add_co_u32_e64 v45, s[0:1], s22, v23
	v_addc_co_u32_e64 v46, s[0:1], v25, v24, s[0:1]
	s_movk_i32 s0, 0x140
	v_cmp_gt_u32_e64 s[0:1], s0, v0
	global_load_dwordx4 v[30:33], v[45:46], off offset:160
	v_cndmask_b32_e64 v39, v10, v54, s[0:1]
	v_lshlrev_b32_e32 v10, 2, v39
	v_lshlrev_b64 v[10:11], 3, v[10:11]
	v_mul_lo_u32 v115, v9, v38
	v_add_co_u32_e64 v80, s[0:1], s22, v10
	v_addc_co_u32_e64 v81, s[0:1], v25, v11, s[0:1]
	global_load_dwordx4 v[40:43], v[80:81], off offset:160
	v_mul_lo_u16_e32 v10, 21, v53
	v_lshrrev_b16_e32 v57, 9, v10
	v_mul_lo_u16_e32 v10, 25, v57
	v_sub_u16_e32 v10, v53, v10
	v_and_b32_e32 v47, 0xff, v10
	v_lshlrev_b32_e32 v49, 5, v47
	global_load_dwordx4 v[62:65], v49, s[22:23] offset:160
	global_load_dwordx4 v[66:69], v[21:22], off offset:176
	ds_read2_b64 v[58:61], v17 offset0:32 offset1:192
	ds_read2_b64 v[70:73], v19 offset0:32 offset1:192
	;; [unrolled: 1-line block ×3, first 2 shown]
	global_load_dwordx4 v[80:83], v[80:81], off offset:176
	s_load_dwordx2 s[0:1], s[4:5], 0x8
	v_mul_lo_u32 v98, v9, v37
	s_waitcnt vmcnt(6) lgkmcnt(0)
	v_mul_f32_e32 v10, v2, v59
	v_mul_f32_e32 v20, v2, v58
	v_fma_f32 v21, v1, v58, -v10
	v_fmac_f32_e32 v20, v1, v59
	v_mul_f32_e32 v1, v4, v73
	v_fma_f32 v25, v3, v72, -v1
	s_waitcnt vmcnt(5)
	v_mul_f32_e32 v1, v61, v6
	v_mul_f32_e32 v10, v60, v6
	v_fma_f32 v11, v60, v5, -v1
	v_fmac_f32_e32 v10, v61, v5
	v_mul_f32_e32 v5, v75, v8
	v_mul_f32_e32 v22, v74, v8
	v_fma_f32 v23, v74, v7, -v5
	v_fmac_f32_e32 v22, v75, v7
	global_load_dwordx4 v[5:8], v[34:35], off offset:176
	v_mul_f32_e32 v24, v4, v72
	v_fmac_f32_e32 v24, v3, v73
	global_load_dwordx4 v[72:75], v[45:46], off offset:176
	ds_read2_b64 v[1:4], v16 offset0:32 offset1:192
	s_waitcnt vmcnt(6)
	v_mul_f32_e32 v16, v77, v33
	v_fma_f32 v17, v76, v32, -v16
	v_mul_f32_e32 v16, v76, v33
	v_fmac_f32_e32 v16, v77, v32
	ds_read2_b64 v[32:35], v18 offset0:32 offset1:192
	s_waitcnt lgkmcnt(1)
	v_mul_f32_e32 v18, v2, v31
	v_fma_f32 v19, v1, v30, -v18
	v_mul_f32_e32 v18, v1, v31
	s_waitcnt vmcnt(5)
	v_mul_f32_e32 v1, v4, v41
	v_fma_f32 v46, v3, v40, -v1
	v_mul_f32_e32 v45, v3, v41
	s_waitcnt lgkmcnt(0)
	v_mul_f32_e32 v1, v33, v43
	v_mul_f32_e32 v60, v32, v43
	v_fmac_f32_e32 v45, v4, v40
	v_fma_f32 v61, v32, v42, -v1
	v_fmac_f32_e32 v60, v33, v42
	ds_read2_b64 v[40:43], v26 offset0:32 offset1:192
	ds_read2_b64 v[76:79], v27 offset0:32 offset1:192
	s_waitcnt vmcnt(4)
	v_mul_f32_e32 v1, v71, v63
	v_fma_f32 v58, v70, v62, -v1
	v_mul_f32_e32 v1, v35, v65
	v_fma_f32 v59, v34, v64, -v1
	s_waitcnt vmcnt(3) lgkmcnt(1)
	v_mul_f32_e32 v1, v67, v41
	v_mul_f32_e32 v50, v34, v65
	v_fma_f32 v33, v66, v40, -v1
	s_waitcnt lgkmcnt(0)
	v_mul_f32_e32 v1, v79, v69
	v_fmac_f32_e32 v18, v2, v30
	v_fmac_f32_e32 v50, v35, v64
	v_fma_f32 v35, v78, v68, -v1
	global_load_dwordx4 v[1:4], v49, s[22:23] offset:176
	v_mul_f32_e32 v32, v67, v40
	v_fmac_f32_e32 v32, v66, v41
	v_mul_f32_e32 v34, v78, v69
	v_fmac_f32_e32 v34, v79, v68
	;; [unrolled: 2-line block ×3, first 2 shown]
	v_mov_b32_e32 v49, 3
	v_mul_lo_u32 v78, v9, v39
	s_waitcnt vmcnt(2)
	v_mul_f32_e32 v26, v43, v6
	v_fma_f32 v27, v42, v5, -v26
	v_mul_f32_e32 v26, v42, v6
	v_fmac_f32_e32 v26, v43, v5
	ds_read2_b64 v[40:43], v28 offset0:32 offset1:192
	s_waitcnt lgkmcnt(0)
	v_mul_f32_e32 v5, v41, v8
	v_fma_f32 v31, v40, v7, -v5
	v_mul_f32_e32 v30, v40, v8
	s_waitcnt vmcnt(1)
	v_mul_f32_e32 v5, v43, v75
	v_mul_f32_e32 v68, v42, v75
	v_fmac_f32_e32 v30, v41, v7
	v_fma_f32 v69, v42, v74, -v5
	v_fmac_f32_e32 v68, v43, v74
	ds_read2_b64 v[40:43], v29 offset0:32 offset1:192
	s_waitcnt lgkmcnt(0)
	v_mul_f32_e32 v5, v41, v73
	v_fma_f32 v71, v40, v72, -v5
	ds_read2_b64 v[5:8], v36 offset0:32 offset1:192
	v_mul_f32_e32 v28, v43, v81
	v_mul_f32_e32 v70, v40, v73
	v_fma_f32 v66, v42, v80, -v28
	v_mul_lo_u32 v40, v9, v52
	s_waitcnt lgkmcnt(0)
	v_mul_f32_e32 v28, v6, v83
	v_fma_f32 v67, v5, v82, -v28
	v_mul_f32_e32 v5, v5, v83
	v_fmac_f32_e32 v5, v6, v82
	v_fmac_f32_e32 v70, v41, v72
	s_waitcnt vmcnt(0)
	v_mul_f32_e32 v6, v77, v2
	v_mul_f32_e32 v62, v76, v2
	v_fma_f32 v63, v76, v1, -v6
	v_fmac_f32_e32 v62, v77, v1
	v_mul_f32_e32 v1, v8, v4
	v_mul_f32_e32 v72, v7, v4
	v_add_u32_e32 v2, 25, v52
	v_fma_f32 v64, v7, v3, -v1
	v_fmac_f32_e32 v72, v8, v3
	v_lshlrev_b32_sdwa v1, v49, v40 dst_sel:DWORD dst_unused:UNUSED_PAD src0_sel:DWORD src1_sel:BYTE_0
	v_mul_lo_u32 v4, v9, v2
	v_lshlrev_b32_sdwa v3, v49, v40 dst_sel:DWORD dst_unused:UNUSED_PAD src0_sel:DWORD src1_sel:BYTE_1
	global_load_dwordx2 v[1:2], v1, s[0:1]
	v_mul_f32_e32 v65, v42, v81
	global_load_dwordx2 v[6:7], v3, s[0:1] offset:2048
	v_lshlrev_b32_sdwa v3, v49, v4 dst_sel:DWORD dst_unused:UNUSED_PAD src0_sel:DWORD src1_sel:BYTE_0
	global_load_dwordx2 v[28:29], v3, s[0:1]
	v_lshlrev_b32_sdwa v3, v49, v4 dst_sel:DWORD dst_unused:UNUSED_PAD src0_sel:DWORD src1_sel:BYTE_1
	global_load_dwordx2 v[41:42], v3, s[0:1] offset:2048
	v_fmac_f32_e32 v65, v43, v80
	v_bfe_u32 v4, v4, 16, 8
	s_waitcnt vmcnt(2)
	v_mul_f32_e32 v89, v1, v7
	v_mul_f32_e32 v3, v2, v7
	v_fmac_f32_e32 v89, v2, v6
	v_add_u32_e32 v2, 50, v52
	v_mul_lo_u32 v84, v9, v2
	v_fma_f32 v88, v1, v6, -v3
	s_waitcnt vmcnt(0)
	v_mul_f32_e32 v1, v29, v42
	v_fma_f32 v113, v28, v41, -v1
	v_lshlrev_b32_sdwa v1, v49, v84 dst_sel:DWORD dst_unused:UNUSED_PAD src0_sel:DWORD src1_sel:BYTE_0
	v_lshlrev_b32_sdwa v3, v49, v84 dst_sel:DWORD dst_unused:UNUSED_PAD src0_sel:DWORD src1_sel:BYTE_1
	global_load_dwordx2 v[1:2], v1, s[0:1]
	v_mul_f32_e32 v114, v28, v42
	global_load_dwordx2 v[6:7], v3, s[0:1] offset:2048
	v_fmac_f32_e32 v114, v29, v41
	s_waitcnt vmcnt(0)
	v_mul_f32_e32 v3, v2, v7
	v_fma_f32 v90, v1, v6, -v3
	v_mul_f32_e32 v91, v1, v7
	v_add_u32_e32 v1, 0x4b, v52
	v_mul_lo_u32 v121, v9, v1
	v_fmac_f32_e32 v91, v2, v6
	v_lshlrev_b32_sdwa v1, v49, v121 dst_sel:DWORD dst_unused:UNUSED_PAD src0_sel:DWORD src1_sel:BYTE_0
	v_lshlrev_b32_sdwa v3, v49, v121 dst_sel:DWORD dst_unused:UNUSED_PAD src0_sel:DWORD src1_sel:BYTE_1
	global_load_dwordx2 v[1:2], v1, s[0:1]
	s_nop 0
	global_load_dwordx2 v[6:7], v3, s[0:1] offset:2048
	s_waitcnt vmcnt(0)
	v_mul_f32_e32 v3, v2, v7
	v_fma_f32 v122, v1, v6, -v3
	v_mul_f32_e32 v123, v1, v7
	v_add_u32_e32 v1, 0x64, v52
	v_mul_lo_u32 v118, v9, v1
	v_fmac_f32_e32 v123, v2, v6
	v_lshlrev_b32_sdwa v1, v49, v118 dst_sel:DWORD dst_unused:UNUSED_PAD src0_sel:DWORD src1_sel:BYTE_0
	v_lshlrev_b32_sdwa v3, v49, v118 dst_sel:DWORD dst_unused:UNUSED_PAD src0_sel:DWORD src1_sel:BYTE_1
	global_load_dwordx2 v[1:2], v1, s[0:1]
	s_nop 0
	global_load_dwordx2 v[6:7], v3, s[0:1] offset:2048
	s_waitcnt vmcnt(0)
	v_mul_f32_e32 v3, v2, v7
	v_fma_f32 v119, v1, v6, -v3
	v_mul_f32_e32 v120, v1, v7
	v_lshlrev_b32_sdwa v1, v49, v115 dst_sel:DWORD dst_unused:UNUSED_PAD src0_sel:DWORD src1_sel:BYTE_0
	v_lshlrev_b32_sdwa v3, v49, v115 dst_sel:DWORD dst_unused:UNUSED_PAD src0_sel:DWORD src1_sel:BYTE_1
	v_fmac_f32_e32 v120, v2, v6
	global_load_dwordx2 v[1:2], v1, s[0:1]
	s_nop 0
	global_load_dwordx2 v[6:7], v3, s[0:1] offset:2048
	s_waitcnt vmcnt(0)
	v_mul_f32_e32 v3, v2, v7
	v_fma_f32 v116, v1, v6, -v3
	v_mul_f32_e32 v117, v1, v7
	v_add_u32_e32 v1, 25, v38
	v_mul_lo_u32 v110, v9, v1
	v_fmac_f32_e32 v117, v2, v6
	v_lshlrev_b32_sdwa v1, v49, v110 dst_sel:DWORD dst_unused:UNUSED_PAD src0_sel:DWORD src1_sel:BYTE_0
	v_lshlrev_b32_sdwa v3, v49, v110 dst_sel:DWORD dst_unused:UNUSED_PAD src0_sel:DWORD src1_sel:BYTE_1
	global_load_dwordx2 v[1:2], v1, s[0:1]
	s_nop 0
	global_load_dwordx2 v[6:7], v3, s[0:1] offset:2048
	s_waitcnt vmcnt(0)
	v_mul_f32_e32 v3, v2, v7
	v_fma_f32 v111, v1, v6, -v3
	v_mul_f32_e32 v112, v1, v7
	v_add_u32_e32 v1, 50, v38
	v_mul_lo_u32 v107, v9, v1
	v_fmac_f32_e32 v112, v2, v6
	v_lshlrev_b32_sdwa v1, v49, v107 dst_sel:DWORD dst_unused:UNUSED_PAD src0_sel:DWORD src1_sel:BYTE_0
	v_lshlrev_b32_sdwa v3, v49, v107 dst_sel:DWORD dst_unused:UNUSED_PAD src0_sel:DWORD src1_sel:BYTE_1
	global_load_dwordx2 v[1:2], v1, s[0:1]
	s_nop 0
	global_load_dwordx2 v[6:7], v3, s[0:1] offset:2048
	s_waitcnt vmcnt(0)
	v_mul_f32_e32 v3, v2, v7
	v_fma_f32 v108, v1, v6, -v3
	v_mul_f32_e32 v109, v1, v7
	v_add_u32_e32 v1, 0x4b, v38
	v_mul_lo_u32 v104, v9, v1
	v_fmac_f32_e32 v109, v2, v6
	v_lshlrev_b32_sdwa v1, v49, v104 dst_sel:DWORD dst_unused:UNUSED_PAD src0_sel:DWORD src1_sel:BYTE_0
	v_lshlrev_b32_sdwa v3, v49, v104 dst_sel:DWORD dst_unused:UNUSED_PAD src0_sel:DWORD src1_sel:BYTE_1
	global_load_dwordx2 v[1:2], v1, s[0:1]
	s_nop 0
	global_load_dwordx2 v[6:7], v3, s[0:1] offset:2048
	s_waitcnt vmcnt(0)
	v_mul_f32_e32 v3, v2, v7
	v_fma_f32 v105, v1, v6, -v3
	v_mul_f32_e32 v106, v1, v7
	v_add_u32_e32 v1, 0x64, v38
	v_mul_lo_u32 v101, v9, v1
	v_fmac_f32_e32 v106, v2, v6
	v_lshlrev_b32_sdwa v1, v49, v101 dst_sel:DWORD dst_unused:UNUSED_PAD src0_sel:DWORD src1_sel:BYTE_0
	v_lshlrev_b32_sdwa v3, v49, v101 dst_sel:DWORD dst_unused:UNUSED_PAD src0_sel:DWORD src1_sel:BYTE_1
	global_load_dwordx2 v[1:2], v1, s[0:1]
	s_nop 0
	global_load_dwordx2 v[6:7], v3, s[0:1] offset:2048
	s_waitcnt vmcnt(0)
	v_mul_f32_e32 v3, v2, v7
	v_fma_f32 v102, v1, v6, -v3
	v_mul_f32_e32 v103, v1, v7
	v_lshlrev_b32_sdwa v1, v49, v98 dst_sel:DWORD dst_unused:UNUSED_PAD src0_sel:DWORD src1_sel:BYTE_0
	v_lshlrev_b32_sdwa v3, v49, v98 dst_sel:DWORD dst_unused:UNUSED_PAD src0_sel:DWORD src1_sel:BYTE_1
	v_fmac_f32_e32 v103, v2, v6
	global_load_dwordx2 v[1:2], v1, s[0:1]
	s_nop 0
	global_load_dwordx2 v[6:7], v3, s[0:1] offset:2048
	s_waitcnt vmcnt(0)
	v_mul_f32_e32 v3, v2, v7
	v_fma_f32 v99, v1, v6, -v3
	v_mul_f32_e32 v100, v1, v7
	v_add_u32_e32 v1, 25, v37
	v_mul_lo_u32 v95, v9, v1
	v_fmac_f32_e32 v100, v2, v6
	v_lshlrev_b32_sdwa v1, v49, v95 dst_sel:DWORD dst_unused:UNUSED_PAD src0_sel:DWORD src1_sel:BYTE_0
	v_lshlrev_b32_sdwa v3, v49, v95 dst_sel:DWORD dst_unused:UNUSED_PAD src0_sel:DWORD src1_sel:BYTE_1
	global_load_dwordx2 v[1:2], v1, s[0:1]
	s_nop 0
	global_load_dwordx2 v[6:7], v3, s[0:1] offset:2048
	s_waitcnt vmcnt(0)
	v_mul_f32_e32 v3, v2, v7
	v_fma_f32 v96, v1, v6, -v3
	v_mul_f32_e32 v97, v1, v7
	v_add_u32_e32 v1, 50, v37
	v_mul_lo_u32 v92, v9, v1
	v_fmac_f32_e32 v97, v2, v6
	v_lshlrev_b32_sdwa v1, v49, v92 dst_sel:DWORD dst_unused:UNUSED_PAD src0_sel:DWORD src1_sel:BYTE_0
	v_lshlrev_b32_sdwa v3, v49, v92 dst_sel:DWORD dst_unused:UNUSED_PAD src0_sel:DWORD src1_sel:BYTE_1
	global_load_dwordx2 v[1:2], v1, s[0:1]
	s_nop 0
	global_load_dwordx2 v[6:7], v3, s[0:1] offset:2048
	;; [unrolled: 58-line block ×3, first 2 shown]
	s_waitcnt vmcnt(0)
	v_mul_f32_e32 v3, v2, v7
	v_fma_f32 v37, v1, v6, -v3
	v_mul_f32_e32 v38, v1, v7
	v_add_u32_e32 v1, 0x4b, v39
	v_mul_lo_u32 v28, v9, v1
	v_fmac_f32_e32 v38, v2, v6
	v_lshlrev_b32_sdwa v1, v49, v28 dst_sel:DWORD dst_unused:UNUSED_PAD src0_sel:DWORD src1_sel:BYTE_0
	v_lshlrev_b32_sdwa v3, v49, v28 dst_sel:DWORD dst_unused:UNUSED_PAD src0_sel:DWORD src1_sel:BYTE_1
	global_load_dwordx2 v[1:2], v1, s[0:1]
	s_nop 0
	global_load_dwordx2 v[6:7], v3, s[0:1] offset:2048
	s_waitcnt vmcnt(0)
	v_mul_f32_e32 v3, v2, v7
	v_fma_f32 v29, v1, v6, -v3
	v_mul_f32_e32 v36, v1, v7
	v_add_u32_e32 v1, 0x64, v39
	v_mul_lo_u32 v8, v9, v1
	v_fmac_f32_e32 v36, v2, v6
	v_add_u32_e32 v39, 25, v47
	v_lshlrev_b32_sdwa v1, v49, v8 dst_sel:DWORD dst_unused:UNUSED_PAD src0_sel:DWORD src1_sel:BYTE_0
	v_lshlrev_b32_sdwa v3, v49, v8 dst_sel:DWORD dst_unused:UNUSED_PAD src0_sel:DWORD src1_sel:BYTE_1
	global_load_dwordx2 v[1:2], v1, s[0:1]
	s_nop 0
	global_load_dwordx2 v[73:74], v3, s[0:1] offset:2048
	s_waitcnt vmcnt(0)
	v_mul_f32_e32 v3, v2, v74
	v_fma_f32 v6, v1, v73, -v3
	v_mul_lo_u32 v3, v9, v47
	v_mul_f32_e32 v7, v1, v74
	v_fmac_f32_e32 v7, v2, v73
	v_lshlrev_b32_sdwa v1, v49, v3 dst_sel:DWORD dst_unused:UNUSED_PAD src0_sel:DWORD src1_sel:BYTE_0
	global_load_dwordx2 v[73:74], v1, s[0:1]
	v_lshlrev_b32_sdwa v1, v49, v3 dst_sel:DWORD dst_unused:UNUSED_PAD src0_sel:DWORD src1_sel:BYTE_1
	global_load_dwordx2 v[75:76], v1, s[0:1] offset:2048
	v_bfe_u32 v3, v3, 16, 8
	s_waitcnt vmcnt(0)
	v_mul_f32_e32 v1, v74, v76
	v_mul_f32_e32 v2, v73, v76
	v_fma_f32 v1, v73, v75, -v1
	v_fmac_f32_e32 v2, v74, v75
	v_mul_lo_u32 v75, v9, v39
	v_mov_b32_e32 v76, 0x1000
	v_lshl_or_b32 v4, v4, 3, v76
	v_lshl_or_b32 v3, v3, 3, v76
	v_lshlrev_b32_sdwa v39, v49, v75 dst_sel:DWORD dst_unused:UNUSED_PAD src0_sel:DWORD src1_sel:BYTE_0
	global_load_dwordx2 v[124:125], v39, s[0:1]
	v_lshlrev_b32_sdwa v39, v49, v75 dst_sel:DWORD dst_unused:UNUSED_PAD src0_sel:DWORD src1_sel:BYTE_1
	global_load_dwordx2 v[126:127], v39, s[0:1] offset:2048
	s_waitcnt vmcnt(0)
	v_mul_f32_e32 v39, v125, v127
	v_fma_f32 v73, v124, v126, -v39
	v_bfe_u32 v39, v40, 16, 8
	v_lshl_or_b32 v39, v39, 3, v76
	global_load_dwordx2 v[39:40], v39, s[0:1]
	v_mul_f32_e32 v74, v124, v127
	v_fmac_f32_e32 v74, v125, v126
	s_waitcnt vmcnt(0)
	v_mul_f32_e32 v124, v89, v40
	v_fma_f32 v124, v39, v88, -v124
	v_mul_f32_e32 v88, v88, v40
	v_fmac_f32_e32 v88, v39, v89
	global_load_dwordx2 v[39:40], v4, s[0:1]
	s_waitcnt vmcnt(0)
	v_mul_f32_e32 v4, v114, v40
	v_fma_f32 v89, v39, v113, -v4
	v_bfe_u32 v4, v84, 16, 8
	v_mul_f32_e32 v113, v113, v40
	v_lshl_or_b32 v4, v4, 3, v76
	v_fmac_f32_e32 v113, v39, v114
	global_load_dwordx2 v[39:40], v4, s[0:1]
	s_waitcnt vmcnt(0)
	v_mul_f32_e32 v4, v91, v40
	v_fma_f32 v84, v39, v90, -v4
	v_bfe_u32 v4, v121, 16, 8
	v_mul_f32_e32 v90, v90, v40
	v_lshl_or_b32 v4, v4, 3, v76
	;; [unrolled: 8-line block ×4, first 2 shown]
	v_fmac_f32_e32 v119, v39, v120
	global_load_dwordx2 v[39:40], v4, s[0:1]
	v_sub_f32_e32 v120, v21, v35
	s_waitcnt vmcnt(0)
	v_mul_f32_e32 v4, v117, v40
	v_fma_f32 v115, v39, v116, -v4
	v_bfe_u32 v4, v110, 16, 8
	v_mul_f32_e32 v116, v116, v40
	v_lshl_or_b32 v4, v4, 3, v76
	v_fmac_f32_e32 v116, v39, v117
	global_load_dwordx2 v[39:40], v4, s[0:1]
	s_waitcnt vmcnt(0)
	v_mul_f32_e32 v4, v112, v40
	v_fma_f32 v110, v39, v111, -v4
	v_bfe_u32 v4, v107, 16, 8
	v_mul_f32_e32 v111, v111, v40
	v_lshl_or_b32 v4, v4, 3, v76
	v_fmac_f32_e32 v111, v39, v112
	global_load_dwordx2 v[39:40], v4, s[0:1]
	v_sub_f32_e32 v112, v25, v33
	s_waitcnt vmcnt(0)
	v_mul_f32_e32 v4, v109, v40
	v_fma_f32 v107, v39, v108, -v4
	v_bfe_u32 v4, v104, 16, 8
	v_mul_f32_e32 v108, v108, v40
	v_lshl_or_b32 v4, v4, 3, v76
	v_fmac_f32_e32 v108, v39, v109
	global_load_dwordx2 v[39:40], v4, s[0:1]
	v_sub_f32_e32 v109, v20, v34
	s_waitcnt vmcnt(0)
	v_mul_f32_e32 v4, v106, v40
	v_fma_f32 v104, v39, v105, -v4
	v_bfe_u32 v4, v101, 16, 8
	v_mul_f32_e32 v105, v105, v40
	v_lshl_or_b32 v4, v4, 3, v76
	v_fmac_f32_e32 v105, v39, v106
	global_load_dwordx2 v[39:40], v4, s[0:1]
	s_waitcnt vmcnt(0)
	v_mul_f32_e32 v4, v103, v40
	v_fma_f32 v101, v39, v102, -v4
	v_bfe_u32 v4, v98, 16, 8
	v_mul_f32_e32 v102, v102, v40
	v_lshl_or_b32 v4, v4, 3, v76
	v_fmac_f32_e32 v102, v39, v103
	global_load_dwordx2 v[39:40], v4, s[0:1]
	;; [unrolled: 8-line block ×10, first 2 shown]
	s_waitcnt vmcnt(0)
	v_mul_f32_e32 v4, v36, v38
	v_fma_f32 v97, v37, v29, -v4
	v_bfe_u32 v4, v8, 16, 8
	v_lshl_or_b32 v4, v4, 3, v76
	v_mul_f32_e32 v100, v29, v38
	global_load_dwordx2 v[28:29], v4, s[0:1]
	v_add_f32_e32 v8, v20, v34
	v_fmac_f32_e32 v100, v37, v36
	v_sub_f32_e32 v36, v24, v32
	s_waitcnt vmcnt(0)
	v_mul_f32_e32 v4, v7, v29
	v_fma_f32 v103, v28, v6, -v4
	global_load_dwordx2 v[3:4], v3, s[0:1]
	v_mul_f32_e32 v6, v6, v29
	v_fmac_f32_e32 v6, v28, v7
	s_waitcnt vmcnt(0)
	v_mul_f32_e32 v7, v2, v4
	v_mul_f32_e32 v106, v1, v4
	v_fma_f32 v77, v3, v1, -v7
	v_fmac_f32_e32 v106, v3, v2
	v_sub_f32_e32 v1, v25, v21
	v_sub_f32_e32 v2, v33, v35
	v_add_f32_e32 v3, v1, v2
	ds_read_b64 v[1:2], v12
	v_add_f32_e32 v4, v24, v32
	v_sub_f32_e32 v12, v32, v34
	s_waitcnt lgkmcnt(0)
	v_fma_f32 v4, -0.5, v4, v2
	v_add_f32_e32 v7, v2, v20
	v_fmac_f32_e32 v2, -0.5, v8
	v_sub_f32_e32 v8, v24, v20
	v_add_f32_e32 v8, v8, v12
	v_add_f32_e32 v12, v21, v35
	v_fma_f32 v12, -0.5, v12, v1
	v_mov_b32_e32 v37, v12
	v_fmac_f32_e32 v12, 0x3f737871, v36
	v_fmac_f32_e32 v12, 0xbf167918, v109
	v_mov_b32_e32 v117, v2
	v_fmac_f32_e32 v2, 0xbf737871, v112
	v_fmac_f32_e32 v12, 0x3e9e377a, v3
	;; [unrolled: 1-line block ×4, first 2 shown]
	v_mul_f32_e32 v29, v12, v114
	v_mul_f32_e32 v28, v2, v114
	v_fmac_f32_e32 v29, v2, v91
	v_add_f32_e32 v2, v25, v33
	v_fma_f32 v2, -0.5, v2, v1
	v_add_f32_e32 v1, v1, v21
	v_add_f32_e32 v1, v1, v25
	;; [unrolled: 1-line block ×7, first 2 shown]
	v_fma_f32 v28, v12, v91, -v28
	v_mul_f32_e32 v12, v7, v88
	v_mul_f32_e32 v43, v1, v88
	v_fma_f32 v42, v1, v124, -v12
	v_fmac_f32_e32 v43, v7, v124
	v_sub_f32_e32 v1, v21, v25
	v_sub_f32_e32 v7, v35, v33
	v_add_f32_e32 v1, v1, v7
	v_sub_f32_e32 v7, v20, v24
	v_sub_f32_e32 v12, v34, v32
	v_add_f32_e32 v7, v7, v12
	v_mov_b32_e32 v12, v2
	v_mov_b32_e32 v20, v4
	v_fmac_f32_e32 v117, 0x3f737871, v112
	v_fmac_f32_e32 v4, 0x3f737871, v120
	;; [unrolled: 1-line block ×14, first 2 shown]
	v_mul_f32_e32 v3, v117, v90
	v_fmac_f32_e32 v2, 0x3e9e377a, v1
	v_mul_f32_e32 v1, v4, v119
	v_fma_f32 v40, v37, v84, -v3
	v_mul_f32_e32 v41, v37, v90
	v_fma_f32 v36, v2, v118, -v1
	v_mul_f32_e32 v37, v2, v119
	v_sub_f32_e32 v1, v23, v11
	v_sub_f32_e32 v2, v27, v31
	v_add_f32_e32 v3, v1, v2
	ds_read_b64 v[1:2], v15
	v_fmac_f32_e32 v20, 0xbf737871, v120
	v_fmac_f32_e32 v20, 0xbf167918, v112
	;; [unrolled: 1-line block ×3, first 2 shown]
	v_mul_f32_e32 v21, v20, v113
	v_fmac_f32_e32 v37, v4, v118
	v_add_f32_e32 v4, v22, v26
	v_add_f32_e32 v8, v10, v30
	v_fma_f32 v38, v12, v89, -v21
	v_mul_f32_e32 v39, v12, v113
	s_waitcnt lgkmcnt(0)
	v_fma_f32 v4, -0.5, v4, v2
	v_add_f32_e32 v7, v2, v10
	v_fmac_f32_e32 v2, -0.5, v8
	v_sub_f32_e32 v8, v22, v10
	v_sub_f32_e32 v12, v26, v30
	v_add_f32_e32 v8, v8, v12
	v_add_f32_e32 v12, v11, v31
	v_fma_f32 v12, -0.5, v12, v1
	v_sub_f32_e32 v15, v22, v26
	v_fmac_f32_e32 v41, v117, v84
	v_mov_b32_e32 v24, v12
	v_fmac_f32_e32 v12, 0x3f737871, v15
	v_sub_f32_e32 v25, v10, v30
	v_sub_f32_e32 v84, v23, v27
	v_fmac_f32_e32 v39, v20, v89
	v_fmac_f32_e32 v12, 0xbf167918, v25
	v_mov_b32_e32 v88, v2
	v_fmac_f32_e32 v2, 0xbf737871, v84
	v_sub_f32_e32 v89, v11, v31
	v_fmac_f32_e32 v12, 0x3e9e377a, v3
	v_fmac_f32_e32 v2, 0x3f167918, v89
	;; [unrolled: 1-line block ×3, first 2 shown]
	v_mul_f32_e32 v21, v12, v105
	v_mul_f32_e32 v20, v2, v105
	v_fmac_f32_e32 v21, v2, v104
	v_add_f32_e32 v2, v23, v27
	v_fma_f32 v2, -0.5, v2, v1
	v_add_f32_e32 v1, v1, v11
	v_add_f32_e32 v1, v1, v23
	;; [unrolled: 1-line block ×7, first 2 shown]
	v_fma_f32 v20, v12, v104, -v20
	v_mul_f32_e32 v12, v7, v116
	v_mul_f32_e32 v35, v1, v116
	v_fma_f32 v34, v1, v115, -v12
	v_fmac_f32_e32 v35, v7, v115
	v_sub_f32_e32 v1, v11, v23
	v_sub_f32_e32 v7, v31, v27
	v_add_f32_e32 v1, v1, v7
	v_sub_f32_e32 v7, v10, v22
	v_sub_f32_e32 v10, v30, v26
	v_add_f32_e32 v7, v7, v10
	v_mov_b32_e32 v10, v2
	v_mov_b32_e32 v11, v4
	v_fmac_f32_e32 v4, 0x3f737871, v89
	v_fmac_f32_e32 v10, 0x3f737871, v25
	;; [unrolled: 1-line block ×14, first 2 shown]
	v_mul_f32_e32 v1, v4, v102
	v_fmac_f32_e32 v24, 0x3e9e377a, v3
	v_mul_f32_e32 v3, v88, v108
	v_fma_f32 v26, v2, v101, -v1
	v_mul_f32_e32 v27, v2, v102
	v_sub_f32_e32 v1, v17, v19
	v_sub_f32_e32 v2, v71, v69
	v_fma_f32 v30, v24, v107, -v3
	v_add_f32_e32 v3, v1, v2
	ds_read_b64 v[1:2], v14
	v_fmac_f32_e32 v11, 0xbf737871, v89
	v_fmac_f32_e32 v11, 0xbf167918, v84
	;; [unrolled: 1-line block ×3, first 2 shown]
	v_mul_f32_e32 v12, v11, v111
	v_fmac_f32_e32 v27, v4, v101
	v_add_f32_e32 v4, v16, v70
	v_add_f32_e32 v8, v18, v68
	v_fma_f32 v32, v10, v110, -v12
	v_mul_f32_e32 v33, v10, v111
	s_waitcnt lgkmcnt(0)
	v_fma_f32 v4, -0.5, v4, v2
	v_add_f32_e32 v7, v2, v18
	v_fmac_f32_e32 v2, -0.5, v8
	v_sub_f32_e32 v8, v16, v18
	v_sub_f32_e32 v10, v70, v68
	v_mul_f32_e32 v31, v24, v108
	v_add_f32_e32 v8, v8, v10
	v_add_f32_e32 v10, v19, v69
	v_sub_f32_e32 v84, v17, v71
	v_fmac_f32_e32 v33, v11, v110
	v_fmac_f32_e32 v31, v88, v107
	v_fma_f32 v11, -0.5, v10, v1
	v_sub_f32_e32 v12, v16, v70
	v_mov_b32_e32 v88, v2
	v_fmac_f32_e32 v2, 0xbf737871, v84
	v_sub_f32_e32 v89, v19, v69
	v_mov_b32_e32 v14, v11
	v_fmac_f32_e32 v11, 0x3f737871, v12
	v_sub_f32_e32 v15, v18, v68
	v_fmac_f32_e32 v2, 0x3f167918, v89
	v_fmac_f32_e32 v11, 0xbf167918, v15
	;; [unrolled: 1-line block ×4, first 2 shown]
	v_mul_f32_e32 v10, v2, v86
	v_fma_f32 v10, v11, v85, -v10
	v_mul_f32_e32 v11, v11, v86
	v_fmac_f32_e32 v11, v2, v85
	v_add_f32_e32 v2, v17, v71
	v_fma_f32 v2, -0.5, v2, v1
	v_add_f32_e32 v1, v1, v19
	v_add_f32_e32 v1, v1, v17
	;; [unrolled: 1-line block ×7, first 2 shown]
	v_mul_f32_e32 v22, v7, v99
	v_mul_f32_e32 v25, v1, v99
	v_fma_f32 v24, v1, v98, -v22
	v_fmac_f32_e32 v25, v7, v98
	v_sub_f32_e32 v1, v19, v17
	v_sub_f32_e32 v7, v69, v71
	v_add_f32_e32 v1, v1, v7
	v_sub_f32_e32 v7, v18, v16
	v_sub_f32_e32 v16, v68, v70
	v_add_f32_e32 v7, v7, v16
	v_mov_b32_e32 v16, v2
	v_fmac_f32_e32 v16, 0x3f737871, v15
	v_mov_b32_e32 v17, v4
	v_fmac_f32_e32 v16, 0x3f167918, v12
	v_fmac_f32_e32 v17, 0xbf737871, v89
	;; [unrolled: 1-line block ×11, first 2 shown]
	v_mul_f32_e32 v19, v16, v96
	v_fmac_f32_e32 v14, 0x3f167918, v15
	v_fmac_f32_e32 v88, 0x3e9e377a, v8
	;; [unrolled: 1-line block ×4, first 2 shown]
	v_mul_f32_e32 v18, v17, v96
	v_fmac_f32_e32 v19, v17, v95
	v_fmac_f32_e32 v14, 0x3e9e377a, v3
	v_mul_f32_e32 v3, v88, v93
	v_fmac_f32_e32 v4, 0x3e9e377a, v7
	v_mul_f32_e32 v17, v2, v82
	v_fma_f32 v22, v14, v92, -v3
	v_mul_f32_e32 v1, v4, v82
	v_fmac_f32_e32 v17, v4, v81
	ds_read_b64 v[3:4], v13
	v_fma_f32 v18, v16, v95, -v18
	v_fma_f32 v16, v2, v81, -v1
	v_sub_f32_e32 v1, v61, v46
	v_sub_f32_e32 v2, v66, v67
	v_add_f32_e32 v7, v1, v2
	v_add_f32_e32 v1, v60, v65
	s_waitcnt lgkmcnt(0)
	v_fma_f32 v68, -0.5, v1, v4
	v_add_f32_e32 v1, v45, v5
	v_add_f32_e32 v8, v4, v45
	v_fmac_f32_e32 v4, -0.5, v1
	v_sub_f32_e32 v1, v60, v45
	v_sub_f32_e32 v2, v65, v5
	v_add_f32_e32 v69, v1, v2
	v_add_f32_e32 v1, v46, v67
	v_sub_f32_e32 v82, v61, v66
	v_fma_f32 v2, -0.5, v1, v3
	v_sub_f32_e32 v70, v60, v65
	v_mov_b32_e32 v84, v4
	v_fmac_f32_e32 v4, 0xbf737871, v82
	v_sub_f32_e32 v85, v46, v67
	v_mov_b32_e32 v71, v2
	v_fmac_f32_e32 v2, 0x3f737871, v70
	v_sub_f32_e32 v81, v45, v5
	v_fmac_f32_e32 v4, 0x3f167918, v85
	v_fmac_f32_e32 v2, 0xbf167918, v81
	;; [unrolled: 1-line block ×4, first 2 shown]
	v_mul_f32_e32 v1, v4, v100
	v_fma_f32 v1, v2, v97, -v1
	v_mul_f32_e32 v2, v2, v100
	v_fmac_f32_e32 v2, v4, v97
	v_add_f32_e32 v4, v61, v66
	v_fma_f32 v4, -0.5, v4, v3
	v_add_f32_e32 v3, v3, v46
	v_add_f32_e32 v3, v3, v61
	;; [unrolled: 1-line block ×7, first 2 shown]
	v_mul_f32_e32 v12, v8, v79
	v_mul_f32_e32 v15, v3, v79
	;; [unrolled: 1-line block ×3, first 2 shown]
	v_fma_f32 v14, v3, v78, -v12
	v_fmac_f32_e32 v15, v8, v78
	v_sub_f32_e32 v3, v46, v61
	v_sub_f32_e32 v8, v67, v66
	v_add_f32_e32 v3, v3, v8
	v_sub_f32_e32 v8, v45, v60
	v_sub_f32_e32 v5, v5, v65
	v_add_f32_e32 v5, v8, v5
	v_mov_b32_e32 v8, v4
	v_fmac_f32_e32 v8, 0x3f737871, v81
	v_mov_b32_e32 v45, v68
	v_fmac_f32_e32 v8, 0x3f167918, v70
	v_fmac_f32_e32 v45, 0xbf737871, v85
	;; [unrolled: 1-line block ×5, first 2 shown]
	v_mul_f32_e32 v13, v8, v83
	v_mul_f32_e32 v12, v45, v83
	v_fmac_f32_e32 v13, v45, v80
	ds_read_b64 v[45:46], v44
	v_fmac_f32_e32 v4, 0xbf737871, v81
	v_fmac_f32_e32 v4, 0xbf167918, v70
	;; [unrolled: 1-line block ×4, first 2 shown]
	s_waitcnt lgkmcnt(0)
	v_add_f32_e32 v3, v45, v58
	v_fmac_f32_e32 v68, 0x3f167918, v82
	v_add_f32_e32 v3, v3, v59
	v_fmac_f32_e32 v68, 0x3e9e377a, v5
	v_add_f32_e32 v3, v3, v63
	v_add_f32_e32 v44, v3, v64
	v_mul_f32_e32 v3, v68, v6
	v_fma_f32 v5, v4, v103, -v3
	v_add_f32_e32 v3, v59, v63
	v_fma_f32 v60, -0.5, v3, v45
	v_add_f32_e32 v3, v46, v48
	v_add_f32_e32 v3, v3, v50
	;; [unrolled: 1-line block ×3, first 2 shown]
	v_fmac_f32_e32 v84, 0x3f737871, v82
	v_mul_f32_e32 v6, v4, v6
	v_add_f32_e32 v66, v3, v72
	v_fmac_f32_e32 v84, 0xbf167918, v85
	v_fmac_f32_e32 v6, v68, v103
	v_mul_f32_e32 v3, v66, v106
	v_sub_f32_e32 v67, v48, v72
	v_mov_b32_e32 v68, v60
	v_fmac_f32_e32 v84, 0x3e9e377a, v69
	v_fma_f32 v3, v44, v77, -v3
	v_mul_f32_e32 v4, v44, v106
	v_sub_f32_e32 v44, v58, v59
	v_sub_f32_e32 v61, v64, v63
	v_fmac_f32_e32 v68, 0x3f737871, v67
	v_sub_f32_e32 v69, v50, v62
	v_fmac_f32_e32 v60, 0xbf737871, v67
	v_add_f32_e32 v44, v44, v61
	v_fmac_f32_e32 v68, 0x3f167918, v69
	v_fmac_f32_e32 v60, 0xbf167918, v69
	;; [unrolled: 1-line block ×4, first 2 shown]
	v_sub_f32_e32 v44, v59, v58
	v_sub_f32_e32 v61, v63, v64
	v_add_f32_e32 v44, v44, v61
	v_add_f32_e32 v61, v58, v64
	v_fma_f32 v61, -0.5, v61, v45
	v_mov_b32_e32 v65, v61
	v_fmac_f32_e32 v65, 0xbf737871, v69
	v_fmac_f32_e32 v61, 0x3f737871, v69
	;; [unrolled: 1-line block ×6, first 2 shown]
	v_sub_f32_e32 v44, v48, v50
	v_sub_f32_e32 v45, v72, v62
	v_add_f32_e32 v44, v44, v45
	v_add_f32_e32 v45, v50, v62
	v_sub_f32_e32 v64, v58, v64
	v_fma_f32 v58, -0.5, v45, v46
	v_sub_f32_e32 v63, v59, v63
	v_mov_b32_e32 v59, v58
	v_fmac_f32_e32 v59, 0xbf737871, v64
	v_fmac_f32_e32 v58, 0x3f737871, v64
	;; [unrolled: 1-line block ×6, first 2 shown]
	v_add_f32_e32 v44, v48, v72
	v_fmac_f32_e32 v46, -0.5, v44
	v_bfe_u32 v44, v75, 16, 8
	v_lshl_or_b32 v44, v44, 3, v76
	global_load_dwordx2 v[44:45], v44, s[0:1]
	v_sub_f32_e32 v48, v50, v48
	v_sub_f32_e32 v50, v62, v72
	v_fmac_f32_e32 v71, 0xbf737871, v70
	v_add_f32_e32 v48, v48, v50
	v_mov_b32_e32 v50, v46
	v_fmac_f32_e32 v4, v66, v77
	v_fmac_f32_e32 v50, 0x3f737871, v63
	;; [unrolled: 1-line block ×9, first 2 shown]
	v_mul_f32_e32 v7, v84, v94
	v_fma_f32 v12, v8, v80, -v12
	v_fma_f32 v7, v71, v87, -v7
	v_mul_f32_e32 v8, v71, v94
	v_fmac_f32_e32 v23, v88, v92
	v_fmac_f32_e32 v8, v84, v87
	s_waitcnt vmcnt(0)
	v_mul_f32_e32 v62, v74, v45
	v_mul_f32_e32 v45, v73, v45
	v_fma_f32 v70, v44, v73, -v62
	v_fmac_f32_e32 v45, v44, v74
	v_add_u32_e32 v44, 50, v47
	v_mul_lo_u32 v69, v9, v44
	v_mul_f32_e32 v44, v59, v45
	v_fma_f32 v44, v68, v70, -v44
	v_mul_f32_e32 v45, v68, v45
	v_lshlrev_b32_sdwa v62, v49, v69 dst_sel:DWORD dst_unused:UNUSED_PAD src0_sel:DWORD src1_sel:BYTE_0
	v_lshlrev_b32_sdwa v66, v49, v69 dst_sel:DWORD dst_unused:UNUSED_PAD src0_sel:DWORD src1_sel:BYTE_1
	global_load_dwordx2 v[62:63], v62, s[0:1]
	v_bfe_u32 v64, v69, 16, 8
	global_load_dwordx2 v[66:67], v66, s[0:1] offset:2048
	v_lshl_or_b32 v64, v64, 3, v76
	global_load_dwordx2 v[68:69], v64, s[0:1]
	v_fmac_f32_e32 v45, v59, v70
	s_waitcnt vmcnt(1)
	v_mul_f32_e32 v59, v62, v67
	v_mul_f32_e32 v48, v63, v67
	v_fmac_f32_e32 v59, v63, v66
	v_add_u32_e32 v63, 0x4b, v47
	v_mul_lo_u32 v64, v9, v63
	v_fma_f32 v48, v62, v66, -v48
	s_waitcnt vmcnt(0)
	v_mul_f32_e32 v62, v59, v69
	v_fma_f32 v74, v68, v48, -v62
	v_mul_f32_e32 v48, v48, v69
	v_fmac_f32_e32 v48, v68, v59
	v_lshlrev_b32_sdwa v59, v49, v64 dst_sel:DWORD dst_unused:UNUSED_PAD src0_sel:DWORD src1_sel:BYTE_0
	global_load_dwordx2 v[62:63], v59, s[0:1]
	v_lshlrev_b32_sdwa v59, v49, v64 dst_sel:DWORD dst_unused:UNUSED_PAD src0_sel:DWORD src1_sel:BYTE_1
	global_load_dwordx2 v[66:67], v59, s[0:1] offset:2048
	v_bfe_u32 v59, v64, 16, 8
	v_add_u32_e32 v47, 0x64, v47
	v_lshl_or_b32 v59, v59, 3, v76
	v_mul_lo_u32 v9, v9, v47
	global_load_dwordx2 v[68:69], v59, s[0:1]
	v_mul_f32_e32 v47, v50, v48
	v_fma_f32 v47, v65, v74, -v47
	v_lshlrev_b32_sdwa v59, v49, v9 dst_sel:DWORD dst_unused:UNUSED_PAD src0_sel:DWORD src1_sel:BYTE_0
	v_lshlrev_b32_sdwa v49, v49, v9 dst_sel:DWORD dst_unused:UNUSED_PAD src0_sel:DWORD src1_sel:BYTE_1
	v_mul_f32_e32 v48, v65, v48
	global_load_dwordx2 v[64:65], v59, s[0:1]
	global_load_dwordx2 v[70:71], v49, s[0:1] offset:2048
	v_bfe_u32 v9, v9, 16, 8
	v_lshl_or_b32 v9, v9, 3, v76
	global_load_dwordx2 v[72:73], v9, s[0:1]
	v_fmac_f32_e32 v48, v50, v74
	s_movk_i32 s0, 0x31f
	v_cmp_lt_u32_e64 s[0:1], s0, v0
	s_waitcnt vmcnt(4)
	v_mul_f32_e32 v49, v62, v67
	v_mul_f32_e32 v9, v63, v67
	v_fmac_f32_e32 v49, v63, v66
	v_fma_f32 v9, v62, v66, -v9
	s_waitcnt vmcnt(3)
	v_mul_f32_e32 v50, v49, v69
	v_fma_f32 v59, v68, v9, -v50
	v_mul_f32_e32 v9, v9, v69
	v_fmac_f32_e32 v9, v68, v49
	v_mul_f32_e32 v50, v61, v9
	v_mul_f32_e32 v49, v46, v9
	v_fmac_f32_e32 v50, v46, v59
	s_waitcnt vmcnt(1)
	v_mul_f32_e32 v46, v64, v71
	v_mul_f32_e32 v9, v65, v71
	v_fmac_f32_e32 v46, v65, v70
	v_fma_f32 v49, v61, v59, -v49
	v_fma_f32 v9, v64, v70, -v9
	s_waitcnt vmcnt(0)
	v_mul_f32_e32 v59, v46, v73
	v_fma_f32 v59, v72, v9, -v59
	v_mul_f32_e32 v61, v9, v73
	v_mul_lo_u32 v9, s16, v51
	v_mov_b32_e32 v51, 0x7d
	v_cndmask_b32_e64 v51, 0, v51, s[0:1]
	v_add_u32_e32 v62, v52, v51
	v_mul_lo_u32 v63, s20, v62
	v_fmac_f32_e32 v61, v72, v46
	v_mul_f32_e32 v52, v60, v61
	v_mul_f32_e32 v46, v58, v61
	v_fmac_f32_e32 v52, v58, v59
	v_add_u32_e32 v58, 25, v62
	v_fma_f32 v51, v60, v59, -v46
	v_add_lshl_u32 v46, v9, v63, 3
	v_mul_lo_u32 v58, s20, v58
	v_cndmask_b32_e32 v46, -1, v46, vcc
	buffer_store_dwordx2 v[42:43], v46, s[8:11], s2 offen
	v_add_u32_e32 v42, 50, v62
	v_mul_lo_u32 v42, s20, v42
	v_add_lshl_u32 v43, v9, v58, 3
	v_cndmask_b32_e32 v43, -1, v43, vcc
	buffer_store_dwordx2 v[38:39], v43, s[8:11], s2 offen
	v_add_u32_e32 v39, 0x4b, v62
	v_add_lshl_u32 v38, v9, v42, 3
	v_mul_lo_u32 v39, s20, v39
	v_cndmask_b32_e32 v38, -1, v38, vcc
	buffer_store_dwordx2 v[40:41], v38, s[8:11], s2 offen
	v_add_u32_e32 v38, 0x64, v62
	v_mul_lo_u32 v38, s20, v38
	v_add_lshl_u32 v39, v9, v39, 3
	v_cndmask_b32_e32 v39, -1, v39, vcc
	s_movk_i32 s0, 0x27f
	buffer_store_dwordx2 v[28:29], v39, s[8:11], s2 offen
	v_cmp_lt_u32_e64 s[0:1], s0, v0
	v_mov_b32_e32 v29, 0x64
	v_add_lshl_u32 v28, v9, v38, 3
	v_cndmask_b32_e64 v38, 0, v29, s[0:1]
	v_cndmask_b32_e32 v28, -1, v28, vcc
	v_add_u32_e32 v38, v38, v56
	buffer_store_dwordx2 v[36:37], v28, s[8:11], s2 offen
	v_add_u32_e32 v28, 25, v38
	v_mul_lo_u32 v39, s20, v38
	v_mul_lo_u32 v28, s20, v28
	s_movk_i32 s0, 0x1df
	v_cmp_lt_u32_e64 s[0:1], s0, v0
	v_add_lshl_u32 v36, v9, v39, 3
	v_add_lshl_u32 v28, v9, v28, 3
	v_cndmask_b32_e32 v36, -1, v36, vcc
	v_cndmask_b32_e32 v28, -1, v28, vcc
	buffer_store_dwordx2 v[34:35], v36, s[8:11], s2 offen
	v_add_u32_e32 v34, 50, v38
	buffer_store_dwordx2 v[32:33], v28, s[8:11], s2 offen
	v_add_u32_e32 v28, 0x4b, v38
	v_mul_lo_u32 v34, s20, v34
	v_mul_lo_u32 v28, s20, v28
	v_add_lshl_u32 v32, v9, v34, 3
	v_add_lshl_u32 v28, v9, v28, 3
	v_cndmask_b32_e32 v32, -1, v32, vcc
	v_cndmask_b32_e32 v28, -1, v28, vcc
	buffer_store_dwordx2 v[30:31], v32, s[8:11], s2 offen
	buffer_store_dwordx2 v[20:21], v28, s[8:11], s2 offen
	v_add_u32_e32 v20, 0x64, v38
	v_mul_lo_u32 v20, s20, v20
	v_cndmask_b32_e64 v21, 0, v29, s[0:1]
	v_add_u32_e32 v21, v21, v55
	v_mul_lo_u32 v28, s20, v21
	v_add_lshl_u32 v20, v9, v20, 3
	v_cndmask_b32_e32 v20, -1, v20, vcc
	buffer_store_dwordx2 v[26:27], v20, s[8:11], s2 offen
	v_add_lshl_u32 v20, v9, v28, 3
	v_add_u32_e32 v26, 25, v21
	v_cndmask_b32_e32 v20, -1, v20, vcc
	v_mul_lo_u32 v26, s20, v26
	buffer_store_dwordx2 v[24:25], v20, s[8:11], s2 offen
	v_add_u32_e32 v20, 50, v21
	v_mul_lo_u32 v20, s20, v20
	v_add_lshl_u32 v24, v9, v26, 3
	v_cndmask_b32_e32 v24, -1, v24, vcc
	buffer_store_dwordx2 v[18:19], v24, s[8:11], s2 offen
	v_add_lshl_u32 v18, v9, v20, 3
	v_add_u32_e32 v19, 0x4b, v21
	v_cndmask_b32_e32 v18, -1, v18, vcc
	v_mul_lo_u32 v19, s20, v19
	buffer_store_dwordx2 v[22:23], v18, s[8:11], s2 offen
	v_add_u32_e32 v18, 0x64, v21
	v_mul_lo_u32 v18, s20, v18
	s_movk_i32 s0, 0x13f
	v_add_lshl_u32 v19, v9, v19, 3
	v_cmp_lt_u32_e64 s[0:1], s0, v0
	v_cndmask_b32_e32 v19, -1, v19, vcc
	v_cndmask_b32_e64 v0, 0, v29, s[0:1]
	buffer_store_dwordx2 v[10:11], v19, s[8:11], s2 offen
	v_add_lshl_u32 v10, v9, v18, 3
	v_add_u32_e32 v0, v0, v54
	v_cndmask_b32_e32 v10, -1, v10, vcc
	v_mul_lo_u32 v11, s20, v0
	buffer_store_dwordx2 v[16:17], v10, s[8:11], s2 offen
	v_add_u32_e32 v10, 25, v0
	v_mul_lo_u32 v10, s20, v10
	v_add_lshl_u32 v11, v9, v11, 3
	v_cndmask_b32_e32 v11, -1, v11, vcc
	buffer_store_dwordx2 v[14:15], v11, s[8:11], s2 offen
	v_add_lshl_u32 v10, v9, v10, 3
	v_add_u32_e32 v11, 50, v0
	v_cndmask_b32_e32 v10, -1, v10, vcc
	v_mul_lo_u32 v11, s20, v11
	buffer_store_dwordx2 v[12:13], v10, s[8:11], s2 offen
	v_add_u32_e32 v10, 0x4b, v0
	v_mul_lo_u32 v10, s20, v10
	v_add_lshl_u32 v11, v9, v11, 3
	v_cndmask_b32_e32 v11, -1, v11, vcc
	buffer_store_dwordx2 v[7:8], v11, s[8:11], s2 offen
	v_add_lshl_u32 v7, v9, v10, 3
	v_add_u32_e32 v0, 0x64, v0
	v_cndmask_b32_e32 v7, -1, v7, vcc
	v_mul_lo_u32 v0, s20, v0
	buffer_store_dwordx2 v[1:2], v7, s[8:11], s2 offen
	v_mad_u32_u24 v1, v57, s3, v53
	v_mul_lo_u32 v2, s20, v1
	v_add_lshl_u32 v0, v9, v0, 3
	v_cndmask_b32_e32 v0, -1, v0, vcc
	buffer_store_dwordx2 v[5:6], v0, s[8:11], s2 offen
	v_add_lshl_u32 v0, v9, v2, 3
	v_cndmask_b32_e32 v0, -1, v0, vcc
	v_add_u32_e32 v2, 25, v1
	buffer_store_dwordx2 v[3:4], v0, s[8:11], s2 offen
	v_add_u32_e32 v0, 50, v1
	v_mul_lo_u32 v2, s20, v2
	v_mul_lo_u32 v0, s20, v0
	v_add_lshl_u32 v2, v9, v2, 3
	v_add_lshl_u32 v0, v9, v0, 3
	v_cndmask_b32_e32 v2, -1, v2, vcc
	v_cndmask_b32_e32 v0, -1, v0, vcc
	buffer_store_dwordx2 v[44:45], v2, s[8:11], s2 offen
	v_add_u32_e32 v2, 0x4b, v1
	buffer_store_dwordx2 v[47:48], v0, s[8:11], s2 offen
	v_add_u32_e32 v0, 0x64, v1
	v_mul_lo_u32 v2, s20, v2
	v_mul_lo_u32 v0, s20, v0
	v_add_lshl_u32 v1, v9, v2, 3
	v_add_lshl_u32 v0, v9, v0, 3
	v_cndmask_b32_e32 v1, -1, v1, vcc
	v_cndmask_b32_e32 v0, -1, v0, vcc
	buffer_store_dwordx2 v[49:50], v1, s[8:11], s2 offen
	buffer_store_dwordx2 v[51:52], v0, s[8:11], s2 offen
	s_endpgm
	.section	.rodata,"a",@progbits
	.p2align	6, 0x0
	.amdhsa_kernel fft_rtc_fwd_len125_factors_5_5_5_wgs_160_tpt_5_dim2_sp_op_CI_CI_sbcc_twdbase8_3step_dirReg_intrinsicReadWrite
		.amdhsa_group_segment_fixed_size 0
		.amdhsa_private_segment_fixed_size 0
		.amdhsa_kernarg_size 104
		.amdhsa_user_sgpr_count 6
		.amdhsa_user_sgpr_private_segment_buffer 1
		.amdhsa_user_sgpr_dispatch_ptr 0
		.amdhsa_user_sgpr_queue_ptr 0
		.amdhsa_user_sgpr_kernarg_segment_ptr 1
		.amdhsa_user_sgpr_dispatch_id 0
		.amdhsa_user_sgpr_flat_scratch_init 0
		.amdhsa_user_sgpr_private_segment_size 0
		.amdhsa_uses_dynamic_stack 0
		.amdhsa_system_sgpr_private_segment_wavefront_offset 0
		.amdhsa_system_sgpr_workgroup_id_x 1
		.amdhsa_system_sgpr_workgroup_id_y 0
		.amdhsa_system_sgpr_workgroup_id_z 0
		.amdhsa_system_sgpr_workgroup_info 0
		.amdhsa_system_vgpr_workitem_id 0
		.amdhsa_next_free_vgpr 128
		.amdhsa_next_free_sgpr 32
		.amdhsa_reserve_vcc 1
		.amdhsa_reserve_flat_scratch 0
		.amdhsa_float_round_mode_32 0
		.amdhsa_float_round_mode_16_64 0
		.amdhsa_float_denorm_mode_32 3
		.amdhsa_float_denorm_mode_16_64 3
		.amdhsa_dx10_clamp 1
		.amdhsa_ieee_mode 1
		.amdhsa_fp16_overflow 0
		.amdhsa_exception_fp_ieee_invalid_op 0
		.amdhsa_exception_fp_denorm_src 0
		.amdhsa_exception_fp_ieee_div_zero 0
		.amdhsa_exception_fp_ieee_overflow 0
		.amdhsa_exception_fp_ieee_underflow 0
		.amdhsa_exception_fp_ieee_inexact 0
		.amdhsa_exception_int_div_zero 0
	.end_amdhsa_kernel
	.text
.Lfunc_end0:
	.size	fft_rtc_fwd_len125_factors_5_5_5_wgs_160_tpt_5_dim2_sp_op_CI_CI_sbcc_twdbase8_3step_dirReg_intrinsicReadWrite, .Lfunc_end0-fft_rtc_fwd_len125_factors_5_5_5_wgs_160_tpt_5_dim2_sp_op_CI_CI_sbcc_twdbase8_3step_dirReg_intrinsicReadWrite
                                        ; -- End function
	.section	.AMDGPU.csdata,"",@progbits
; Kernel info:
; codeLenInByte = 13340
; NumSgprs: 36
; NumVgprs: 128
; ScratchSize: 0
; MemoryBound: 0
; FloatMode: 240
; IeeeMode: 1
; LDSByteSize: 0 bytes/workgroup (compile time only)
; SGPRBlocks: 4
; VGPRBlocks: 31
; NumSGPRsForWavesPerEU: 36
; NumVGPRsForWavesPerEU: 128
; Occupancy: 2
; WaveLimiterHint : 0
; COMPUTE_PGM_RSRC2:SCRATCH_EN: 0
; COMPUTE_PGM_RSRC2:USER_SGPR: 6
; COMPUTE_PGM_RSRC2:TRAP_HANDLER: 0
; COMPUTE_PGM_RSRC2:TGID_X_EN: 1
; COMPUTE_PGM_RSRC2:TGID_Y_EN: 0
; COMPUTE_PGM_RSRC2:TGID_Z_EN: 0
; COMPUTE_PGM_RSRC2:TIDIG_COMP_CNT: 0
	.type	__hip_cuid_6dd79108013a3e9d,@object ; @__hip_cuid_6dd79108013a3e9d
	.section	.bss,"aw",@nobits
	.globl	__hip_cuid_6dd79108013a3e9d
__hip_cuid_6dd79108013a3e9d:
	.byte	0                               ; 0x0
	.size	__hip_cuid_6dd79108013a3e9d, 1

	.ident	"AMD clang version 19.0.0git (https://github.com/RadeonOpenCompute/llvm-project roc-6.4.0 25133 c7fe45cf4b819c5991fe208aaa96edf142730f1d)"
	.section	".note.GNU-stack","",@progbits
	.addrsig
	.addrsig_sym __hip_cuid_6dd79108013a3e9d
	.amdgpu_metadata
---
amdhsa.kernels:
  - .args:
      - .actual_access:  read_only
        .address_space:  global
        .offset:         0
        .size:           8
        .value_kind:     global_buffer
      - .address_space:  global
        .offset:         8
        .size:           8
        .value_kind:     global_buffer
      - .actual_access:  read_only
        .address_space:  global
        .offset:         16
        .size:           8
        .value_kind:     global_buffer
      - .actual_access:  read_only
        .address_space:  global
        .offset:         24
        .size:           8
        .value_kind:     global_buffer
      - .actual_access:  read_only
        .address_space:  global
        .offset:         32
        .size:           8
        .value_kind:     global_buffer
      - .offset:         40
        .size:           8
        .value_kind:     by_value
      - .actual_access:  read_only
        .address_space:  global
        .offset:         48
        .size:           8
        .value_kind:     global_buffer
      - .actual_access:  read_only
        .address_space:  global
        .offset:         56
        .size:           8
        .value_kind:     global_buffer
      - .offset:         64
        .size:           4
        .value_kind:     by_value
      - .actual_access:  read_only
        .address_space:  global
        .offset:         72
        .size:           8
        .value_kind:     global_buffer
      - .actual_access:  read_only
        .address_space:  global
        .offset:         80
        .size:           8
        .value_kind:     global_buffer
      - .address_space:  global
        .offset:         88
        .size:           8
        .value_kind:     global_buffer
      - .address_space:  global
        .offset:         96
        .size:           8
        .value_kind:     global_buffer
    .group_segment_fixed_size: 0
    .kernarg_segment_align: 8
    .kernarg_segment_size: 104
    .language:       OpenCL C
    .language_version:
      - 2
      - 0
    .max_flat_workgroup_size: 160
    .name:           fft_rtc_fwd_len125_factors_5_5_5_wgs_160_tpt_5_dim2_sp_op_CI_CI_sbcc_twdbase8_3step_dirReg_intrinsicReadWrite
    .private_segment_fixed_size: 0
    .sgpr_count:     36
    .sgpr_spill_count: 0
    .symbol:         fft_rtc_fwd_len125_factors_5_5_5_wgs_160_tpt_5_dim2_sp_op_CI_CI_sbcc_twdbase8_3step_dirReg_intrinsicReadWrite.kd
    .uniform_work_group_size: 1
    .uses_dynamic_stack: false
    .vgpr_count:     128
    .vgpr_spill_count: 0
    .wavefront_size: 64
amdhsa.target:   amdgcn-amd-amdhsa--gfx906
amdhsa.version:
  - 1
  - 2
...

	.end_amdgpu_metadata
